;; amdgpu-corpus repo=ROCm/rocFFT kind=compiled arch=gfx1030 opt=O3
	.text
	.amdgcn_target "amdgcn-amd-amdhsa--gfx1030"
	.amdhsa_code_object_version 6
	.protected	bluestein_single_fwd_len1260_dim1_sp_op_CI_CI ; -- Begin function bluestein_single_fwd_len1260_dim1_sp_op_CI_CI
	.globl	bluestein_single_fwd_len1260_dim1_sp_op_CI_CI
	.p2align	8
	.type	bluestein_single_fwd_len1260_dim1_sp_op_CI_CI,@function
bluestein_single_fwd_len1260_dim1_sp_op_CI_CI: ; @bluestein_single_fwd_len1260_dim1_sp_op_CI_CI
; %bb.0:
	s_load_dwordx4 s[8:11], s[4:5], 0x28
	v_mul_u32_u24_e32 v1, 0x411, v0
	s_mov_b64 s[22:23], s[2:3]
	s_mov_b64 s[20:21], s[0:1]
	v_mov_b32_e32 v147, 0
	s_add_u32 s20, s20, s7
	v_lshrrev_b32_e32 v1, 16, v1
	s_addc_u32 s21, s21, 0
	s_mov_b32 s0, exec_lo
	v_add_nc_u32_e32 v146, s6, v1
	s_waitcnt lgkmcnt(0)
	v_cmpx_gt_u64_e64 s[8:9], v[146:147]
	s_cbranch_execz .LBB0_26
; %bb.1:
	s_clause 0x1
	s_load_dwordx4 s[0:3], s[4:5], 0x18
	s_load_dwordx4 s[12:15], s[4:5], 0x0
	v_mul_lo_u16 v1, v1, 63
	v_sub_nc_u16 v46, v0, v1
	v_and_b32_e32 v200, 0xffff, v46
	v_lshlrev_b32_e32 v199, 3, v200
	v_add_nc_u32_e32 v90, 0x237, v200
	v_add_co_u32 v83, null, 0x17a, v200
	s_waitcnt lgkmcnt(0)
	s_load_dwordx4 s[16:19], s[0:1], 0x0
	v_add_co_u32 v8, s0, s12, v199
	v_add_co_ci_u32_e64 v9, null, s13, 0, s0
	s_clause 0x4
	global_load_dwordx2 v[165:166], v199, s[12:13]
	global_load_dwordx2 v[161:162], v199, s[12:13] offset:504
	global_load_dwordx2 v[163:164], v199, s[12:13] offset:1008
	;; [unrolled: 1-line block ×4, first 2 shown]
	v_add_co_u32 v30, vcc_lo, 0x1000, v8
	v_add_co_ci_u32_e32 v31, vcc_lo, 0, v9, vcc_lo
	v_add_co_u32 v2, vcc_lo, 0x1800, v8
	v_add_co_ci_u32_e32 v3, vcc_lo, 0, v9, vcc_lo
	;; [unrolled: 2-line block ×3, first 2 shown]
	v_add_co_u32 v34, vcc_lo, 0x2000, v8
	s_waitcnt lgkmcnt(0)
	v_mad_u64_u32 v[0:1], null, s18, v146, 0
	v_mad_u64_u32 v[4:5], null, s16, v200, 0
	v_add_co_ci_u32_e32 v35, vcc_lo, 0, v9, vcc_lo
	s_clause 0x6
	global_load_dwordx2 v[179:180], v[30:31], off offset:944
	global_load_dwordx2 v[177:178], v[30:31], off offset:1448
	;; [unrolled: 1-line block ×7, first 2 shown]
	v_mad_u64_u32 v[8:9], null, s19, v146, v[1:2]
	v_mad_u64_u32 v[9:10], null, s17, v200, v[5:6]
	s_mul_i32 s0, s17, 0x13b0
	s_mul_hi_u32 s1, s16, 0x13b0
	s_mul_i32 s6, s16, 0x13b0
	s_add_i32 s1, s1, s0
	v_mov_b32_e32 v1, v8
	s_mul_hi_u32 s8, s16, 0xffffee48
	v_mov_b32_e32 v5, v9
	s_mul_i32 s7, s17, 0xffffee48
	s_mul_i32 s9, s16, 0xffffee48
	v_lshlrev_b64 v[0:1], 3, v[0:1]
	s_sub_i32 s0, s8, s16
	v_lshlrev_b64 v[2:3], 3, v[4:5]
	s_add_i32 s0, s0, s7
	s_clause 0x5
	global_load_dwordx2 v[169:170], v[6:7], off offset:472
	global_load_dwordx2 v[157:158], v[6:7], off offset:976
	;; [unrolled: 1-line block ×6, first 2 shown]
	v_add_co_u32 v0, vcc_lo, s10, v0
	v_add_co_ci_u32_e32 v1, vcc_lo, s11, v1, vcc_lo
	v_add_nc_u32_e32 v63, 0x1000, v199
	v_add_co_u32 v0, vcc_lo, v0, v2
	v_add_co_ci_u32_e32 v1, vcc_lo, v1, v3, vcc_lo
	v_add_nc_u32_e32 v64, 0x1800, v199
	;; [unrolled: 3-line block ×3, first 2 shown]
	v_add_co_u32 v4, vcc_lo, v2, s9
	v_add_co_ci_u32_e32 v5, vcc_lo, s0, v3, vcc_lo
	s_clause 0x1
	global_load_dwordx2 v[36:37], v[0:1], off
	global_load_dwordx2 v[32:33], v[2:3], off
	v_add_co_u32 v6, vcc_lo, v4, s6
	v_add_co_ci_u32_e32 v7, vcc_lo, s1, v5, vcc_lo
	v_add_nc_u32_e32 v66, 0x800, v199
	v_add_co_u32 v8, vcc_lo, v6, s9
	v_add_co_ci_u32_e32 v9, vcc_lo, s0, v7, vcc_lo
	s_clause 0x2
	global_load_dwordx2 v[38:39], v[4:5], off
	global_load_dwordx2 v[28:29], v[6:7], off
	;; [unrolled: 1-line block ×3, first 2 shown]
	v_add_co_u32 v0, vcc_lo, v8, s6
	v_add_co_ci_u32_e32 v1, vcc_lo, s1, v9, vcc_lo
	v_add_nc_u32_e32 v67, 0x2000, v199
	v_add_co_u32 v2, vcc_lo, v0, s9
	v_add_co_ci_u32_e32 v3, vcc_lo, s0, v1, vcc_lo
	global_load_dwordx2 v[24:25], v[0:1], off
	v_add_co_u32 v0, vcc_lo, v2, s6
	v_add_co_ci_u32_e32 v1, vcc_lo, s1, v3, vcc_lo
	global_load_dwordx2 v[26:27], v[2:3], off
	;; [unrolled: 3-line block ×13, first 2 shown]
	v_add_co_u32 v42, vcc_lo, v40, s6
	v_add_co_ci_u32_e32 v43, vcc_lo, s1, v41, vcc_lo
	global_load_dwordx2 v[149:150], v[30:31], off offset:440
	global_load_dwordx2 v[30:31], v[40:41], off
	global_load_dwordx2 v[151:152], v[34:35], off offset:1384
	global_load_dwordx2 v[34:35], v[42:43], off
	v_add_nc_u32_e32 v68, 0xc00, v199
	s_load_dwordx4 s[8:11], s[2:3], 0x0
	v_add_nc_u32_e32 v69, 0x1400, v199
	v_add_nc_u32_e32 v70, 0x1c00, v199
	v_add_co_u32 v80, s0, v200, 63
	v_add_co_ci_u32_e64 v40, null, 0, 0, s0
	v_add_co_u32 v78, s0, 0x7e, v200
	v_add_co_ci_u32_e64 v40, null, 0, 0, s0
	;; [unrolled: 2-line block ×4, first 2 shown]
	v_add_co_u32 v82, s0, 0x13b, v200
	v_lshlrev_b32_e32 v77, 4, v200
	v_add_nc_u32_e32 v91, 0x1b9, v200
	v_lshlrev_b32_e32 v87, 4, v80
	v_and_b32_e32 v73, 1, v90
	v_and_b32_e32 v74, 1, v79
	;; [unrolled: 1-line block ×3, first 2 shown]
	v_add_co_ci_u32_e64 v40, null, 0, 0, s0
	v_lshlrev_b32_e32 v40, 1, v200
	v_and_b32_e32 v41, 1, v200
	v_lshlrev_b32_e32 v86, 4, v78
	v_lshlrev_b32_e32 v85, 4, v79
	;; [unrolled: 1-line block ×8, first 2 shown]
	s_load_dwordx2 s[2:3], s[4:5], 0x38
	v_cmp_gt_u16_e32 vcc_lo, 42, v46
                                        ; implicit-def: $vgpr46
	s_waitcnt vmcnt(21)
	v_mul_f32_e32 v42, v37, v166
	v_mul_f32_e32 v43, v36, v166
	s_waitcnt vmcnt(20)
	v_mul_f32_e32 v45, v32, v180
	v_fmac_f32_e32 v42, v36, v165
	v_mul_f32_e32 v36, v33, v180
	v_fma_f32 v43, v37, v165, -v43
	v_fma_f32 v37, v33, v179, -v45
	s_waitcnt vmcnt(19)
	v_mul_f32_e32 v44, v39, v162
	v_fmac_f32_e32 v36, v32, v179
	s_waitcnt vmcnt(18)
	v_mul_f32_e32 v33, v28, v178
	v_mul_f32_e32 v47, v38, v162
	;; [unrolled: 1-line block ×3, first 2 shown]
	v_fmac_f32_e32 v44, v38, v161
	ds_write_b64 v199, v[36:37] offset:5040
	s_waitcnt vmcnt(17)
	v_mul_f32_e32 v36, v23, v164
	v_fma_f32 v33, v29, v177, -v33
	v_mul_f32_e32 v29, v22, v164
	v_fma_f32 v45, v39, v161, -v47
	v_fmac_f32_e32 v32, v28, v177
	v_fmac_f32_e32 v36, v22, v163
	s_waitcnt vmcnt(16)
	v_mul_f32_e32 v22, v25, v176
	v_mul_f32_e32 v38, v24, v176
	v_fma_f32 v37, v23, v163, -v29
	ds_write2_b64 v199, v[42:43], v[44:45] offset1:63
	s_waitcnt vmcnt(15)
	v_mul_f32_e32 v28, v27, v156
	v_fmac_f32_e32 v22, v24, v175
	v_fma_f32 v23, v25, v175, -v38
	v_mul_f32_e32 v39, v26, v156
	s_waitcnt vmcnt(14)
	v_mul_f32_e32 v25, v20, v174
	v_fmac_f32_e32 v28, v26, v155
	ds_write2_b64 v63, v[32:33], v[22:23] offset0:181 offset1:244
	v_mul_f32_e32 v24, v21, v174
	v_fma_f32 v29, v27, v155, -v39
	s_waitcnt vmcnt(13)
	v_mul_f32_e32 v22, v15, v160
	v_fma_f32 v25, v21, v173, -v25
	v_mul_f32_e32 v21, v14, v160
	v_fmac_f32_e32 v24, v20, v173
	ds_write2_b64 v199, v[36:37], v[28:29] offset0:126 offset1:189
	v_fmac_f32_e32 v22, v14, v159
	s_waitcnt vmcnt(12)
	v_mul_f32_e32 v14, v17, v172
	v_mul_f32_e32 v26, v16, v172
	v_fma_f32 v23, v15, v159, -v21
	s_waitcnt vmcnt(11)
	v_mul_f32_e32 v20, v19, v170
	v_fmac_f32_e32 v14, v16, v171
	v_fma_f32 v15, v17, v171, -v26
	v_mul_f32_e32 v27, v18, v170
	s_waitcnt vmcnt(10)
	v_mul_f32_e32 v17, v10, v168
	v_mul_f32_e32 v16, v11, v168
	ds_write2_b64 v64, v[24:25], v[14:15] offset0:51 offset1:114
	v_fmac_f32_e32 v20, v18, v169
	v_fma_f32 v21, v19, v169, -v27
	s_waitcnt vmcnt(9)
	v_mul_f32_e32 v14, v5, v158
	v_fma_f32 v17, v11, v167, -v17
	v_mul_f32_e32 v11, v4, v158
	v_fmac_f32_e32 v16, v10, v167
	ds_write2_b64 v65, v[22:23], v[20:21] offset0:124 offset1:187
	v_fmac_f32_e32 v14, v4, v157
	s_waitcnt vmcnt(8)
	v_mul_f32_e32 v4, v7, v154
	v_mul_f32_e32 v18, v6, v154
	v_fma_f32 v15, v5, v157, -v11
	s_waitcnt vmcnt(7)
	v_mul_f32_e32 v10, v9, v143
	v_mul_f32_e32 v11, v8, v143
	v_fmac_f32_e32 v4, v6, v153
	v_fma_f32 v5, v7, v153, -v18
	s_waitcnt vmcnt(6)
	v_mul_f32_e32 v6, v1, v148
	v_mul_f32_e32 v7, v0, v148
	v_fmac_f32_e32 v10, v8, v142
	;; [unrolled: 5-line block ×5, first 2 shown]
	s_waitcnt vmcnt(0)
	v_mul_f32_e32 v12, v35, v152
	v_mul_f32_e32 v18, v34, v152
	v_fma_f32 v1, v13, v140, -v1
	v_fmac_f32_e32 v2, v30, v149
	v_fma_f32 v3, v31, v149, -v3
	v_fmac_f32_e32 v12, v34, v151
	v_fma_f32 v13, v35, v151, -v18
	ds_write2_b64 v64, v[16:17], v[4:5] offset0:177 offset1:240
	ds_write2_b64 v66, v[14:15], v[10:11] offset0:122 offset1:185
	;; [unrolled: 1-line block ×4, first 2 shown]
	ds_write_b64 v199, v[12:13] offset:9576
	s_waitcnt lgkmcnt(0)
	s_barrier
	buffer_gl0_inv
	ds_read2_b64 v[0:3], v199 offset1:63
	ds_read2_b64 v[4:7], v63 offset0:118 offset1:181
	ds_read2_b64 v[8:11], v199 offset0:126 offset1:189
	;; [unrolled: 1-line block ×9, first 2 shown]
	s_waitcnt lgkmcnt(0)
	s_barrier
	buffer_gl0_inv
	buffer_store_dword v87, off, s[20:23], 0 offset:52 ; 4-byte Folded Spill
	buffer_store_dword v86, off, s[20:23], 0 offset:32 ; 4-byte Folded Spill
	;; [unrolled: 1-line block ×6, first 2 shown]
	v_sub_f32_e32 v44, v0, v4
	v_sub_f32_e32 v45, v1, v5
	;; [unrolled: 1-line block ×14, first 2 shown]
	v_fma_f32 v42, v0, 2.0, -v44
	v_fma_f32 v43, v1, 2.0, -v45
	;; [unrolled: 1-line block ×4, first 2 shown]
	v_sub_f32_e32 v28, v26, v30
	v_sub_f32_e32 v29, v27, v31
	v_sub_f32_e32 v61, v32, v36
	v_sub_f32_e32 v62, v33, v37
	v_sub_f32_e32 v36, v34, v38
	v_sub_f32_e32 v37, v35, v39
	v_fma_f32 v47, v8, 2.0, -v49
	v_fma_f32 v48, v9, 2.0, -v50
	;; [unrolled: 1-line block ×10, first 2 shown]
	ds_write_b128 v77, v[42:45]
	ds_write_b128 v87, v[2:5]
	v_lshlrev_b32_e32 v0, 3, v74
	v_and_b32_e32 v1, 1, v91
	v_lshlrev_b32_e32 v2, 3, v75
	v_fma_f32 v26, v26, 2.0, -v28
	v_fma_f32 v27, v27, 2.0, -v29
	;; [unrolled: 1-line block ×6, first 2 shown]
	ds_write_b128 v86, v[47:50]
	ds_write_b128 v85, v[10:13]
	;; [unrolled: 1-line block ×5, first 2 shown]
	ds_write_b128 v77, v[26:29] offset:7056
	ds_write_b128 v71, v[59:62] offset:8064
	;; [unrolled: 1-line block ×3, first 2 shown]
	s_waitcnt lgkmcnt(0)
	s_waitcnt_vscnt null, 0x0
	s_barrier
	buffer_gl0_inv
	s_clause 0x2
	global_load_dwordx2 v[130:131], v76, s[14:15]
	global_load_dwordx2 v[134:135], v2, s[14:15]
	;; [unrolled: 1-line block ×3, first 2 shown]
	v_lshlrev_b32_e32 v0, 3, v1
	v_and_b32_e32 v2, 1, v80
	global_load_dwordx2 v[128:129], v72, s[14:15]
	v_lshlrev_b32_e32 v3, 1, v78
	v_lshlrev_b32_e32 v4, 1, v79
	global_load_dwordx2 v[132:133], v0, s[14:15]
	v_lshlrev_b32_e32 v0, 3, v2
	s_clause 0x1
	global_load_dword v196, v76, s[14:15] offset:4
	global_load_dword v197, v0, s[14:15]
	v_lshlrev_b32_e32 v0, 1, v80
	v_lshlrev_b32_e32 v5, 1, v81
	;; [unrolled: 1-line block ×5, first 2 shown]
	v_add_nc_u32_e32 v11, 0x3f0, v40
	v_lshlrev_b32_e32 v10, 1, v90
	v_and_or_b32 v7, 0x7c, v40, v41
	v_and_or_b32 v0, 0xfc, v0, v2
	;; [unrolled: 1-line block ×8, first 2 shown]
	buffer_store_dword v11, off, s[20:23], 0 offset:96 ; 4-byte Folded Spill
	v_and_or_b32 v11, 0x7fc, v11, v41
	v_and_or_b32 v12, 0x4fc, v10, v73
	v_lshlrev_b32_e32 v61, 3, v7
	v_lshlrev_b32_e32 v85, 3, v0
	v_lshlrev_b32_e32 v84, 3, v2
	ds_read2_b64 v[0:3], v63 offset0:118 offset1:181
	v_lshlrev_b32_e32 v77, 3, v4
	v_lshlrev_b32_e32 v76, 3, v5
	v_lshlrev_b32_e32 v75, 3, v6
	ds_read2_b64 v[4:7], v69 offset0:116 offset1:179
	v_lshlrev_b32_e32 v74, 3, v8
	v_lshlrev_b32_e32 v71, 3, v9
	v_lshlrev_b32_e32 v69, 3, v11
	ds_read2_b64 v[8:11], v64 offset0:114 offset1:177
	v_lshlrev_b32_e32 v62, 3, v12
	ds_read2_b64 v[12:15], v199 offset1:63
	ds_read2_b64 v[16:19], v199 offset0:126 offset1:189
	ds_read2_b64 v[20:23], v70 offset0:112 offset1:175
	;; [unrolled: 1-line block ×6, first 2 shown]
	s_waitcnt vmcnt(0) lgkmcnt(0)
	s_waitcnt_vscnt null, 0x0
	s_barrier
	buffer_gl0_inv
	buffer_store_dword v61, off, s[20:23], 0 ; 4-byte Folded Spill
	buffer_store_dword v85, off, s[20:23], 0 offset:48 ; 4-byte Folded Spill
	buffer_store_dword v84, off, s[20:23], 0 offset:44 ; 4-byte Folded Spill
	;; [unrolled: 1-line block ×9, first 2 shown]
	v_mul_f32_e32 v42, v3, v131
	v_mul_f32_e32 v43, v2, v131
	;; [unrolled: 1-line block ×20, first 2 shown]
	v_fma_f32 v0, v0, v128, -v40
	v_fmac_f32_e32 v41, v1, v128
	v_fma_f32 v2, v2, v197, -v42
	v_fmac_f32_e32 v43, v3, v197
	;; [unrolled: 2-line block ×10, first 2 shown]
	v_sub_f32_e32 v0, v12, v0
	v_sub_f32_e32 v1, v13, v41
	;; [unrolled: 1-line block ×20, first 2 shown]
	v_fma_f32 v12, v12, 2.0, -v0
	v_fma_f32 v13, v13, 2.0, -v1
	;; [unrolled: 1-line block ×20, first 2 shown]
	ds_write2_b64 v61, v[12:13], v[0:1] offset1:2
	ds_write2_b64 v85, v[14:15], v[2:3] offset1:2
	;; [unrolled: 1-line block ×10, first 2 shown]
	s_waitcnt lgkmcnt(0)
	s_waitcnt_vscnt null, 0x0
	s_barrier
	buffer_gl0_inv
	ds_read2_b64 v[8:11], v199 offset1:63
	ds_read2_b64 v[20:23], v66 offset0:164 offset1:227
	ds_read2_b64 v[28:31], v64 offset0:72 offset1:135
	;; [unrolled: 1-line block ×8, first 2 shown]
	s_and_saveexec_b32 s0, vcc_lo
	s_cbranch_execz .LBB0_3
; %bb.2:
	ds_read_b64 v[72:73], v199 offset:3024
	ds_read_b64 v[44:45], v199 offset:6384
	;; [unrolled: 1-line block ×3, first 2 shown]
.LBB0_3:
	s_or_b32 exec_lo, exec_lo, s0
	v_and_b32_e32 v48, 3, v200
	v_and_b32_e32 v49, 3, v82
	;; [unrolled: 1-line block ×5, first 2 shown]
	v_lshlrev_b32_e32 v0, 4, v48
	v_lshlrev_b32_e32 v50, 4, v49
	;; [unrolled: 1-line block ×3, first 2 shown]
	buffer_store_dword v4, off, s[20:23], 0 offset:100 ; 4-byte Folded Spill
	v_lshlrev_b32_e32 v4, 4, v51
	s_clause 0x8
	global_load_dwordx4 v[0:3], v0, s[14:15] offset:16
	global_load_dwordx2 v[187:188], v50, s[14:15] offset:16
	global_load_dwordx2 v[185:186], v50, s[14:15] offset:24
	global_load_dwordx2 v[183:184], v52, s[14:15] offset:16
	global_load_dwordx2 v[181:182], v52, s[14:15] offset:24
	global_load_dwordx4 v[4:7], v4, s[14:15] offset:16
	global_load_dwordx2 v[189:190], v50, s[14:15] offset:20
	global_load_dword v222, v50, s[14:15] offset:28
	global_load_dwordx2 v[191:192], v52, s[14:15] offset:20
	v_and_b32_e32 v50, 3, v78
	global_load_dword v221, v52, s[14:15] offset:28
	v_lshlrev_b32_e32 v52, 4, v53
	v_lshrrev_b32_e32 v55, 2, v78
	v_lshrrev_b32_e32 v56, 2, v79
	v_lshlrev_b32_e32 v54, 4, v50
	s_clause 0x1
	global_load_dword v227, v52, s[14:15] offset:16
	global_load_dword v226, v54, s[14:15] offset:16
	v_lshrrev_b32_e32 v52, 2, v200
	v_lshrrev_b32_e32 v54, 2, v80
	;; [unrolled: 1-line block ×4, first 2 shown]
	v_mul_u32_u24_e32 v55, 12, v55
	v_mul_u32_u24_e32 v52, 12, v52
	v_mul_u32_u24_e32 v54, 12, v54
	v_mul_u32_u24_e32 v56, 12, v56
	v_mul_u32_u24_e32 v57, 12, v57
	v_mul_u32_u24_e32 v58, 12, v58
	v_lshrrev_b32_e32 v59, 2, v83
	v_or_b32_e32 v52, v52, v48
	v_or_b32_e32 v53, v54, v53
	v_or_b32_e32 v50, v55, v50
	v_or_b32_e32 v51, v56, v51
	v_or_b32_e32 v48, v57, v48
	v_or_b32_e32 v49, v58, v49
	buffer_store_dword v59, off, s[20:23], 0 offset:104 ; 4-byte Folded Spill
	v_lshlrev_b32_e32 v97, 3, v52
	v_lshlrev_b32_e32 v96, 3, v53
	;; [unrolled: 1-line block ×6, first 2 shown]
	s_waitcnt vmcnt(0) lgkmcnt(0)
	s_waitcnt_vscnt null, 0x0
	s_barrier
	buffer_gl0_inv
	buffer_store_dword v97, off, s[20:23], 0 offset:84 ; 4-byte Folded Spill
	v_mul_f32_e32 v56, v25, v184
	v_mul_f32_e32 v48, v21, v1
	;; [unrolled: 1-line block ×28, first 2 shown]
	v_fma_f32 v20, v20, v0, -v48
	v_fmac_f32_e32 v49, v21, v0
	v_fma_f32 v21, v28, v2, -v50
	v_fmac_f32_e32 v51, v29, v2
	;; [unrolled: 2-line block ×14, first 2 shown]
	v_add_f32_e32 v35, v20, v21
	v_add_f32_e32 v38, v49, v51
	;; [unrolled: 1-line block ×9, first 2 shown]
	v_sub_f32_e32 v64, v65, v67
	v_add_f32_e32 v66, v17, v65
	v_add_f32_e32 v65, v65, v67
	;; [unrolled: 1-line block ×3, first 2 shown]
	v_sub_f32_e32 v76, v69, v71
	v_add_f32_e32 v84, v19, v69
	v_add_f32_e32 v69, v69, v71
	;; [unrolled: 1-line block ×5, first 2 shown]
	v_sub_f32_e32 v36, v49, v51
	v_add_f32_e32 v37, v9, v49
	v_sub_f32_e32 v39, v20, v21
	v_add_f32_e32 v40, v10, v22
	;; [unrolled: 2-line block ×11, first 2 shown]
	v_sub_f32_e32 v91, v32, v33
	v_fma_f32 v8, -0.5, v35, v8
	v_fma_f32 v9, -0.5, v38, v9
	v_fma_f32 v10, -0.5, v41, v10
	v_fmac_f32_e32 v11, -0.5, v44
	v_fma_f32 v12, -0.5, v47, v12
	v_fma_f32 v13, -0.5, v50, v13
	v_fma_f32 v14, -0.5, v54, v14
	v_fmac_f32_e32 v15, -0.5, v58
	;; [unrolled: 4-line block ×3, first 2 shown]
	v_fmac_f32_e32 v72, -0.5, v87
	v_fmac_f32_e32 v73, -0.5, v90
	v_add_f32_e32 v20, v34, v21
	v_add_f32_e32 v21, v37, v51
	;; [unrolled: 1-line block ×6, first 2 shown]
	v_fmamk_f32 v32, v36, 0x3f5db3d7, v8
	v_fmac_f32_e32 v8, 0xbf5db3d7, v36
	v_fmamk_f32 v33, v39, 0xbf5db3d7, v9
	v_fmac_f32_e32 v9, 0x3f5db3d7, v39
	;; [unrolled: 2-line block ×14, first 2 shown]
	v_add_f32_e32 v24, v46, v25
	v_add_f32_e32 v25, v49, v59
	;; [unrolled: 1-line block ×8, first 2 shown]
	ds_write2_b64 v97, v[20:21], v[32:33] offset1:4
	ds_write_b64 v97, v[8:9] offset:64
	ds_write2_b64 v96, v[22:23], v[34:35] offset1:4
	buffer_store_dword v96, off, s[20:23], 0 offset:80 ; 4-byte Folded Spill
	ds_write_b64 v96, v[10:11] offset:64
	ds_write2_b64 v95, v[24:25], v[36:37] offset1:4
	buffer_store_dword v95, off, s[20:23], 0 offset:76 ; 4-byte Folded Spill
	;; [unrolled: 3-line block ×5, first 2 shown]
	ds_write_b64 v92, v[18:19] offset:64
	s_and_saveexec_b32 s0, vcc_lo
	s_cbranch_execz .LBB0_5
; %bb.4:
	v_lshrrev_b32_e32 v8, 2, v83
	v_and_b32_e32 v9, 3, v83
	v_mul_u32_u24_e32 v8, 12, v8
	v_or_b32_e32 v8, v8, v9
	v_lshlrev_b32_e32 v8, 3, v8
	ds_write2_b64 v8, v[74:75], v[76:77] offset1:4
	ds_write_b64 v8, v[72:73] offset:64
.LBB0_5:
	s_or_b32 exec_lo, exec_lo, s0
	v_add_nc_u32_e32 v8, 0x800, v199
	v_add_nc_u32_e32 v9, 0x1800, v199
	s_waitcnt lgkmcnt(0)
	s_waitcnt_vscnt null, 0x0
	s_barrier
	buffer_gl0_inv
	ds_read2_b64 v[36:39], v199 offset1:63
	ds_read2_b64 v[60:63], v8 offset0:164 offset1:227
	ds_read2_b64 v[56:59], v9 offset0:72 offset1:135
	v_add_nc_u32_e32 v8, 0x1000, v199
	v_add_nc_u32_e32 v9, 0x1c00, v199
	v_add_nc_u32_e32 v10, 0x400, v199
	v_add_nc_u32_e32 v11, 0x2000, v199
	ds_read2_b64 v[40:43], v199 offset0:126 offset1:189
	ds_read2_b64 v[68:71], v8 offset0:34 offset1:97
	;; [unrolled: 1-line block ×6, first 2 shown]
	s_and_saveexec_b32 s0, vcc_lo
	s_cbranch_execz .LBB0_7
; %bb.6:
	ds_read_b64 v[74:75], v199 offset:3024
	ds_read_b64 v[76:77], v199 offset:6384
	;; [unrolled: 1-line block ×3, first 2 shown]
.LBB0_7:
	s_or_b32 exec_lo, exec_lo, s0
	v_and_b32_e32 v8, 0xff, v200
	v_and_b32_e32 v86, 0xff, v80
	;; [unrolled: 1-line block ×4, first 2 shown]
	v_mov_b32_e32 v9, 0xaaab
	v_mul_lo_u16 v8, 0xab, v8
	v_mul_lo_u16 v10, 0xab, v86
	v_mov_b32_e32 v99, 36
	v_mul_lo_u16 v11, 0xab, v85
	v_mul_u32_u24_sdwa v12, v81, v9 dst_sel:DWORD dst_unused:UNUSED_PAD src0_sel:WORD_0 src1_sel:DWORD
	v_lshrrev_b16 v87, 11, v8
	v_mul_lo_u16 v8, 0xab, v84
	v_lshrrev_b16 v88, 11, v10
	v_lshrrev_b16 v90, 11, v11
	v_mul_u32_u24_sdwa v13, v82, v9 dst_sel:DWORD dst_unused:UNUSED_PAD src0_sel:WORD_0 src1_sel:DWORD
	v_mul_lo_u16 v10, v87, 12
	v_lshrrev_b16 v89, 11, v8
	v_mul_u32_u24_sdwa v9, v83, v9 dst_sel:DWORD dst_unused:UNUSED_PAD src0_sel:WORD_0 src1_sel:DWORD
	v_mul_lo_u16 v8, v88, 12
	v_lshrrev_b32_e32 v91, 19, v12
	v_sub_nc_u16 v10, v200, v10
	v_mul_lo_u16 v11, v89, 12
	v_lshrrev_b32_e32 v95, 19, v9
	v_sub_nc_u16 v8, v80, v8
	v_lshrrev_b32_e32 v93, 19, v13
	v_and_b32_e32 v92, 0xff, v10
	v_mul_lo_u16 v10, v90, 12
	v_sub_nc_u16 v11, v78, v11
	v_and_b32_e32 v94, 0xff, v8
	v_mul_lo_u16 v87, v87, 36
	v_lshlrev_b32_e32 v8, 4, v92
	v_sub_nc_u16 v9, v79, v10
	v_and_b32_e32 v96, 0xff, v11
	v_lshlrev_b32_e32 v10, 4, v94
	v_mul_lo_u16 v11, v95, 12
	global_load_dwordx4 v[32:35], v8, s[14:15] offset:80
	v_and_b32_e32 v97, 0xff, v9
	v_lshlrev_b32_e32 v9, 4, v96
	global_load_dwordx4 v[28:31], v10, s[14:15] offset:80
	v_sub_nc_u16 v83, v83, v11
	v_mul_u32_u24_sdwa v88, v88, v99 dst_sel:DWORD dst_unused:UNUSED_PAD src0_sel:WORD_0 src1_sel:DWORD
	v_lshlrev_b32_e32 v12, 4, v97
	global_load_dwordx4 v[24:27], v9, s[14:15] offset:80
	v_mul_lo_u16 v8, v91, 12
	v_mul_u32_u24_sdwa v89, v89, v99 dst_sel:DWORD dst_unused:UNUSED_PAD src0_sel:WORD_0 src1_sel:DWORD
	v_and_b32_e32 v87, 0xfc, v87
	global_load_dwordx4 v[20:23], v12, s[14:15] offset:80
	v_mul_lo_u16 v10, v93, 12
	v_sub_nc_u16 v98, v81, v8
	v_mov_b32_e32 v81, 3
	v_mul_u32_u24_sdwa v90, v90, v99 dst_sel:DWORD dst_unused:UNUSED_PAD src0_sel:WORD_0 src1_sel:DWORD
	v_add_lshl_u32 v234, v87, v92, 3
	v_sub_nc_u16 v82, v82, v10
	v_lshlrev_b16 v8, 4, v98
	v_lshlrev_b16 v10, 4, v83
	v_mad_u16 v91, v91, 36, v98
	v_mad_u16 v83, v95, 36, v83
	v_lshlrev_b16 v9, 4, v82
	v_and_b32_e32 v8, 0xffff, v8
	v_and_b32_e32 v12, 0xffff, v10
	v_mad_u16 v82, v93, 36, v82
	v_add_lshl_u32 v233, v88, v94, 3
	v_and_b32_e32 v11, 0xffff, v9
	v_add_co_u32 v8, s0, s14, v8
	v_add_co_ci_u32_e64 v9, null, s15, 0, s0
	v_add_co_u32 v10, s0, s14, v11
	v_add_co_ci_u32_e64 v11, null, s15, 0, s0
	global_load_dwordx4 v[16:19], v[8:9], off offset:80
	v_add_co_u32 v8, s0, s14, v12
	v_add_co_ci_u32_e64 v9, null, s15, 0, s0
	s_clause 0x1
	global_load_dwordx4 v[12:15], v[10:11], off offset:80
	global_load_dwordx4 v[8:11], v[8:9], off offset:80
	buffer_store_dword v83, off, s[20:23], 0 offset:88 ; 4-byte Folded Spill
	v_add_lshl_u32 v232, v89, v96, 3
	v_add_lshl_u32 v231, v90, v97, 3
	v_lshlrev_b32_sdwa v230, v81, v91 dst_sel:DWORD dst_unused:UNUSED_PAD src0_sel:DWORD src1_sel:WORD_0
	v_lshlrev_b32_sdwa v104, v81, v82 dst_sel:DWORD dst_unused:UNUSED_PAD src0_sel:DWORD src1_sel:WORD_0
	s_waitcnt vmcnt(0) lgkmcnt(0)
	s_waitcnt_vscnt null, 0x0
	s_barrier
	buffer_gl0_inv
	v_mul_f32_e32 v82, v61, v33
	v_mul_f32_e32 v83, v60, v33
	;; [unrolled: 1-line block ×16, first 2 shown]
	v_fma_f32 v60, v60, v32, -v82
	v_fmac_f32_e32 v83, v61, v32
	v_fma_f32 v61, v56, v34, -v87
	v_fmac_f32_e32 v88, v57, v34
	;; [unrolled: 2-line block ×8, first 2 shown]
	v_add_f32_e32 v97, v42, v64
	v_add_f32_e32 v102, v43, v98
	;; [unrolled: 1-line block ×3, first 2 shown]
	v_mul_f32_e32 v66, v53, v17
	v_mul_f32_e32 v67, v52, v17
	;; [unrolled: 1-line block ×4, first 2 shown]
	v_sub_f32_e32 v101, v98, v100
	v_fma_f32 v66, v52, v16, -v66
	v_mul_f32_e32 v69, v55, v13
	v_mul_f32_e32 v70, v54, v13
	;; [unrolled: 1-line block ×8, first 2 shown]
	v_fmac_f32_e32 v67, v53, v16
	v_fma_f32 v93, v48, v18, -v68
	v_fmac_f32_e32 v82, v49, v18
	v_fma_f32 v68, v54, v12, -v69
	;; [unrolled: 2-line block ×5, first 2 shown]
	v_fmac_f32_e32 v56, v73, v10
	v_add_f32_e32 v50, v36, v60
	v_add_f32_e32 v51, v60, v61
	v_sub_f32_e32 v69, v83, v88
	v_add_f32_e32 v53, v37, v83
	v_add_f32_e32 v54, v83, v88
	v_sub_f32_e32 v71, v60, v61
	v_add_f32_e32 v55, v38, v62
	v_add_f32_e32 v60, v62, v58
	v_add_f32_e32 v76, v90, v92
	v_sub_f32_e32 v77, v62, v58
	v_add_f32_e32 v62, v40, v59
	;; [unrolled: 4-line block ×3, first 2 shown]
	v_sub_f32_e32 v89, v94, v96
	v_add_f32_e32 v90, v41, v94
	v_sub_f32_e32 v94, v59, v63
	v_add_f32_e32 v98, v98, v100
	v_add_f32_e32 v50, v50, v61
	v_fma_f32 v52, -0.5, v51, v36
	v_add_f32_e32 v51, v53, v88
	v_fma_f32 v53, -0.5, v54, v37
	;; [unrolled: 2-line block ×3, first 2 shown]
	v_fmac_f32_e32 v39, -0.5, v76
	v_add_f32_e32 v58, v62, v63
	v_fma_f32 v60, -0.5, v83, v40
	v_fma_f32 v61, -0.5, v91, v41
	v_add_f32_e32 v62, v97, v65
	v_fma_f32 v42, -0.5, v99, v42
	v_add_f32_e32 v63, v102, v100
	v_add_f32_e32 v40, v44, v66
	;; [unrolled: 1-line block ×10, first 2 shown]
	v_fmac_f32_e32 v43, -0.5, v98
	v_sub_f32_e32 v83, v67, v82
	v_add_f32_e32 v73, v45, v67
	v_sub_f32_e32 v88, v66, v93
	v_add_f32_e32 v90, v46, v68
	;; [unrolled: 2-line block ×3, first 2 shown]
	v_sub_f32_e32 v98, v68, v95
	v_sub_f32_e32 v36, v57, v56
	;; [unrolled: 1-line block ×3, first 2 shown]
	v_fmamk_f32 v66, v72, 0x3f5db3d7, v38
	v_fmac_f32_e32 v38, 0xbf5db3d7, v72
	v_add_f32_e32 v72, v40, v93
	v_fma_f32 v44, -0.5, v41, v44
	v_fma_f32 v45, -0.5, v76, v45
	;; [unrolled: 1-line block ×3, first 2 shown]
	v_fmac_f32_e32 v47, -0.5, v97
	v_fma_f32 v40, -0.5, v99, v74
	v_fma_f32 v41, -0.5, v100, v75
	v_sub_f32_e32 v103, v64, v65
	v_fmamk_f32 v64, v69, 0x3f5db3d7, v52
	v_fmamk_f32 v65, v71, 0xbf5db3d7, v53
	;; [unrolled: 1-line block ×3, first 2 shown]
	v_fmac_f32_e32 v39, 0x3f5db3d7, v77
	v_add_f32_e32 v73, v73, v82
	v_add_f32_e32 v77, v96, v87
	v_fmamk_f32 v82, v83, 0x3f5db3d7, v44
	v_fmac_f32_e32 v44, 0xbf5db3d7, v83
	v_fmamk_f32 v83, v88, 0xbf5db3d7, v45
	v_fmac_f32_e32 v45, 0x3f5db3d7, v88
	;; [unrolled: 2-line block ×4, first 2 shown]
	v_fmamk_f32 v138, v36, 0xbf5db3d7, v40
	v_fmamk_f32 v139, v37, 0x3f5db3d7, v41
	v_fmac_f32_e32 v52, 0xbf5db3d7, v69
	v_fmac_f32_e32 v53, 0x3f5db3d7, v71
	v_fmamk_f32 v68, v89, 0x3f5db3d7, v60
	v_fmamk_f32 v69, v94, 0xbf5db3d7, v61
	v_fmac_f32_e32 v60, 0xbf5db3d7, v89
	v_fmac_f32_e32 v61, 0x3f5db3d7, v94
	v_fmamk_f32 v70, v101, 0x3f5db3d7, v42
	v_fmac_f32_e32 v42, 0xbf5db3d7, v101
	v_fmamk_f32 v71, v103, 0xbf5db3d7, v43
	v_fmac_f32_e32 v43, 0x3f5db3d7, v103
	v_add_f32_e32 v76, v90, v95
	ds_write2_b64 v234, v[50:51], v[64:65] offset1:12
	ds_write_b64 v234, v[52:53] offset:192
	ds_write2_b64 v233, v[54:55], v[66:67] offset1:12
	ds_write_b64 v233, v[38:39] offset:192
	;; [unrolled: 2-line block ×5, first 2 shown]
	ds_write2_b64 v104, v[76:77], v[87:88] offset1:12
	buffer_store_dword v104, off, s[20:23], 0 offset:92 ; 4-byte Folded Spill
	ds_write_b64 v104, v[46:47] offset:192
	s_and_saveexec_b32 s0, vcc_lo
	s_cbranch_execz .LBB0_9
; %bb.8:
	v_add_f32_e32 v38, v75, v57
	v_mul_f32_e32 v42, 0x3f5db3d7, v37
	v_add_f32_e32 v39, v74, v49
	v_mul_f32_e32 v43, 0x3f5db3d7, v36
	v_add_f32_e32 v37, v38, v56
	buffer_load_dword v38, off, s[20:23], 0 offset:88 ; 4-byte Folded Reload
	v_add_f32_e32 v36, v39, v48
	v_sub_f32_e32 v39, v41, v42
	s_waitcnt vmcnt(0)
	v_lshlrev_b32_sdwa v41, v81, v38 dst_sel:DWORD dst_unused:UNUSED_PAD src0_sel:DWORD src1_sel:WORD_0
	v_add_f32_e32 v38, v43, v40
	ds_write2_b64 v41, v[36:37], v[38:39] offset1:12
	ds_write_b64 v41, v[138:139] offset:192
.LBB0_9:
	s_or_b32 exec_lo, exec_lo, s0
	v_add_co_u32 v36, s0, 0xffffffdc, v200
	v_mul_lo_u16 v38, v86, 57
	v_add_co_ci_u32_e64 v37, null, 0, -1, s0
	v_cmp_gt_u16_e64 s0, 36, v200
	s_waitcnt lgkmcnt(0)
	s_waitcnt_vscnt null, 0x0
	v_lshrrev_b16 v68, 11, v38
	s_barrier
	buffer_gl0_inv
	v_cndmask_b32_e64 v52, v36, v200, s0
	v_cndmask_b32_e64 v53, v37, 0, s0
	v_mul_lo_u16 v38, v68, 36
	v_mul_lo_u16 v54, v85, 57
	v_add_nc_u32_e32 v55, 0xc00, v199
	v_add_nc_u32_e32 v70, 0x1400, v199
	v_lshlrev_b64 v[36:37], 5, v[52:53]
	v_sub_nc_u16 v38, v80, v38
	v_mul_lo_u16 v53, v84, 57
	v_add_nc_u32_e32 v56, 0x1c00, v199
	v_lshrrev_b16 v107, 11, v54
	v_add_nc_u32_e32 v71, 0x800, v199
	v_add_co_u32 v36, s0, s14, v36
	v_add_co_ci_u32_e64 v37, s0, s15, v37, s0
	v_and_b32_e32 v69, 0xff, v38
	v_lshrrev_b16 v106, 11, v53
	v_add_nc_u32_e32 v53, 0x400, v199
	s_clause 0x1
	global_load_dwordx4 v[48:51], v[36:37], off offset:272
	global_load_dwordx4 v[44:47], v[36:37], off offset:288
	v_lshlrev_b32_e32 v36, 5, v69
	s_clause 0x1
	global_load_dwordx4 v[40:43], v36, s[14:15] offset:272
	global_load_dwordx4 v[36:39], v36, s[14:15] offset:288
	ds_read2_b64 v[58:61], v53 offset0:124 offset1:187
	ds_read2_b64 v[74:77], v55 offset0:120 offset1:183
	v_mul_lo_u16 v54, v106, 36
	ds_read2_b64 v[80:83], v70 offset0:116 offset1:179
	ds_read2_b64 v[84:87], v56 offset0:112 offset1:175
	v_mul_lo_u16 v53, v107, 36
	ds_read2_b64 v[88:91], v199 offset1:63
	v_cmp_lt_u16_e64 s0, 35, v200
	v_sub_nc_u16 v54, v78, v54
	v_add_nc_u32_e32 v73, 0x1000, v199
	v_sub_nc_u16 v53, v79, v53
	v_add_nc_u32_e32 v72, 0x1800, v199
	v_and_b32_e32 v108, 0xff, v54
	v_cndmask_b32_e64 v54, 0, 0xb4, s0
	v_and_b32_e32 v109, 0xff, v53
	v_cmp_gt_u16_e64 s0, 54, v200
	v_lshlrev_b32_e32 v53, 5, v108
	v_add_lshl_u32 v235, v52, v54, 3
	v_lshlrev_b32_e32 v62, 5, v109
	s_clause 0x1
	global_load_dwordx4 v[64:67], v53, s[14:15] offset:272
	global_load_dwordx4 v[52:55], v53, s[14:15] offset:288
	s_waitcnt vmcnt(5) lgkmcnt(4)
	v_mul_f32_e32 v56, v59, v49
	v_mul_f32_e32 v110, v58, v49
	s_waitcnt lgkmcnt(3)
	v_mul_f32_e32 v57, v75, v51
	s_waitcnt vmcnt(4) lgkmcnt(2)
	v_mul_f32_e32 v63, v81, v45
	v_mul_f32_e32 v111, v74, v51
	v_fma_f32 v114, v58, v48, -v56
	v_fmac_f32_e32 v110, v59, v48
	v_fma_f32 v115, v74, v50, -v57
	v_fma_f32 v116, v80, v44, -v63
	global_load_dwordx4 v[56:59], v62, s[14:15] offset:272
	s_waitcnt vmcnt(4)
	v_mul_f32_e32 v63, v61, v41
	v_mul_f32_e32 v118, v60, v41
	;; [unrolled: 1-line block ×4, first 2 shown]
	v_fmac_f32_e32 v111, v75, v50
	v_mul_f32_e32 v74, v77, v43
	v_fma_f32 v120, v60, v40, -v63
	v_fmac_f32_e32 v118, v61, v40
	s_waitcnt vmcnt(3) lgkmcnt(1)
	v_mul_f32_e32 v60, v87, v39
	s_waitcnt lgkmcnt(0)
	v_add_f32_e32 v61, v88, v114
	v_fmac_f32_e32 v119, v77, v42
	v_add_f32_e32 v77, v89, v110
	v_mul_f32_e32 v79, v85, v47
	v_mul_f32_e32 v113, v84, v47
	v_fmac_f32_e32 v112, v81, v44
	v_fma_f32 v126, v86, v38, -v60
	v_add_f32_e32 v60, v61, v115
	v_add_f32_e32 v61, v77, v111
	v_fma_f32 v117, v84, v46, -v79
	v_fmac_f32_e32 v113, v85, v46
	v_add_f32_e32 v63, v115, v116
	v_add_f32_e32 v60, v60, v116
	;; [unrolled: 1-line block ×3, first 2 shown]
	v_mul_f32_e32 v75, v83, v37
	v_sub_f32_e32 v125, v110, v113
	v_fma_f32 v100, -0.5, v63, v88
	v_add_f32_e32 v104, v60, v117
	v_add_f32_e32 v105, v61, v113
	global_load_dwordx4 v[60:63], v62, s[14:15] offset:288
	v_fma_f32 v124, v82, v36, -v75
	v_add_f32_e32 v75, v111, v112
	v_sub_f32_e32 v127, v114, v117
	v_fma_f32 v123, v76, v42, -v74
	v_sub_f32_e32 v74, v114, v115
	v_sub_f32_e32 v76, v117, v116
	v_fma_f32 v101, -0.5, v75, v89
	v_sub_f32_e32 v79, v110, v111
	v_sub_f32_e32 v80, v113, v112
	;; [unrolled: 1-line block ×4, first 2 shown]
	v_fmamk_f32 v102, v125, 0x3f737871, v100
	v_fmamk_f32 v103, v127, 0xbf737871, v101
	v_add_f32_e32 v203, v74, v76
	v_add_f32_e32 v204, v79, v80
	v_mul_f32_e32 v121, v82, v37
	v_fmac_f32_e32 v102, 0x3f167918, v201
	v_fmac_f32_e32 v103, 0xbf167918, v202
	v_mul_f32_e32 v122, v86, v39
	v_add_nc_u32_e32 v79, 0x2000, v199
	v_fmac_f32_e32 v121, v83, v36
	v_fmac_f32_e32 v102, 0x3e9e377a, v203
	v_fmac_f32_e32 v103, 0x3e9e377a, v204
	v_fmac_f32_e32 v122, v87, v38
	ds_read2_b64 v[74:77], v199 offset0:126 offset1:189
	ds_read2_b64 v[80:83], v71 offset0:122 offset1:185
	;; [unrolled: 1-line block ×5, first 2 shown]
	s_waitcnt vmcnt(0) lgkmcnt(0)
	s_barrier
	buffer_gl0_inv
	ds_write2_b64 v235, v[104:105], v[102:103] offset1:36
	v_add_f32_e32 v104, v114, v117
	v_sub_f32_e32 v102, v115, v114
	v_sub_f32_e32 v103, v116, v117
	v_fmac_f32_e32 v100, 0xbf737871, v125
	v_fmac_f32_e32 v101, 0x3f737871, v127
	v_fma_f32 v88, -0.5, v104, v88
	v_sub_f32_e32 v105, v111, v110
	v_add_f32_e32 v110, v110, v113
	v_add_f32_e32 v103, v102, v103
	v_fmac_f32_e32 v100, 0xbf167918, v201
	v_fmamk_f32 v102, v201, 0xbf737871, v88
	v_fmac_f32_e32 v88, 0x3f737871, v201
	v_fmac_f32_e32 v101, 0x3f167918, v202
	v_fma_f32 v89, -0.5, v110, v89
	v_fmac_f32_e32 v100, 0x3e9e377a, v203
	v_fmac_f32_e32 v102, 0x3f167918, v125
	;; [unrolled: 1-line block ×4, first 2 shown]
	v_sub_f32_e32 v111, v112, v113
	v_sub_f32_e32 v112, v119, v121
	v_fmac_f32_e32 v102, 0x3e9e377a, v103
	v_fmac_f32_e32 v88, 0x3e9e377a, v103
	v_fmamk_f32 v103, v202, 0x3f737871, v89
	v_fmac_f32_e32 v89, 0xbf737871, v202
	ds_write_b64 v235, v[100:101] offset:1152
	v_mov_b32_e32 v100, 0xb4
	v_add_f32_e32 v104, v105, v111
	v_fmac_f32_e32 v103, 0xbf167918, v127
	v_fmac_f32_e32 v89, 0x3f167918, v127
	v_add_f32_e32 v101, v90, v120
	v_mul_u32_u24_sdwa v68, v68, v100 dst_sel:DWORD dst_unused:UNUSED_PAD src0_sel:WORD_0 src1_sel:DWORD
	v_sub_f32_e32 v113, v118, v122
	v_fmac_f32_e32 v103, 0x3e9e377a, v104
	v_fmac_f32_e32 v89, 0x3e9e377a, v104
	v_sub_f32_e32 v114, v123, v124
	v_add_lshl_u32 v236, v68, v69, 3
	v_add_f32_e32 v68, v123, v124
	v_add_f32_e32 v69, v120, v126
	ds_write2_b64 v235, v[102:103], v[88:89] offset0:72 offset1:108
	v_sub_f32_e32 v88, v124, v126
	v_add_f32_e32 v102, v91, v118
	v_fma_f32 v68, -0.5, v68, v90
	v_fma_f32 v90, -0.5, v69, v90
	v_sub_f32_e32 v69, v123, v120
	v_sub_f32_e32 v103, v121, v122
	;; [unrolled: 1-line block ×3, first 2 shown]
	v_add_f32_e32 v89, v69, v88
	v_add_f32_e32 v69, v119, v121
	;; [unrolled: 1-line block ×3, first 2 shown]
	v_fma_f32 v69, -0.5, v69, v91
	v_fmac_f32_e32 v91, -0.5, v88
	v_sub_f32_e32 v88, v119, v118
	v_add_f32_e32 v103, v88, v103
	v_fmamk_f32 v88, v112, 0xbf737871, v90
	v_fmac_f32_e32 v90, 0x3f737871, v112
	v_fmac_f32_e32 v88, 0x3f167918, v113
	;; [unrolled: 1-line block ×5, first 2 shown]
	v_fmamk_f32 v89, v114, 0x3f737871, v91
	v_fmac_f32_e32 v91, 0xbf737871, v114
	v_fmac_f32_e32 v89, 0xbf167918, v115
	;; [unrolled: 1-line block ×5, first 2 shown]
	ds_write2_b64 v236, v[88:89], v[90:91] offset0:72 offset1:108
	v_mul_f32_e32 v88, v81, v65
	v_mul_f32_e32 v89, v80, v65
	v_fma_f32 v88, v80, v64, -v88
	v_fmac_f32_e32 v89, v81, v64
	v_mul_u32_u24_sdwa v81, v107, v100 dst_sel:DWORD dst_unused:UNUSED_PAD src0_sel:WORD_0 src1_sel:DWORD
	v_add_f32_e32 v103, v75, v89
	v_add_lshl_u32 v237, v81, v109, 3
	v_add_f32_e32 v81, v102, v119
	v_add_f32_e32 v102, v74, v88
	;; [unrolled: 1-line block ×4, first 2 shown]
	v_mul_f32_e32 v80, v83, v57
	v_mul_f32_e32 v91, v82, v57
	v_fma_f32 v90, v82, v56, -v80
	v_mul_f32_e32 v80, v85, v67
	v_fmac_f32_e32 v91, v83, v56
	v_fma_f32 v82, v84, v66, -v80
	v_mul_f32_e32 v84, v84, v67
	v_mul_f32_e32 v80, v87, v59
	v_add_f32_e32 v102, v102, v82
	v_fmac_f32_e32 v84, v85, v66
	v_fma_f32 v85, v86, v58, -v80
	v_mul_f32_e32 v80, v93, v53
	v_mul_f32_e32 v86, v86, v59
	v_sub_f32_e32 v104, v88, v82
	v_add_f32_e32 v103, v103, v84
	v_sub_f32_e32 v109, v82, v88
	v_fma_f32 v83, v92, v52, -v80
	v_fmac_f32_e32 v86, v87, v58
	v_mul_f32_e32 v87, v92, v53
	v_mul_f32_e32 v80, v95, v61
	v_add_f32_e32 v105, v82, v83
	v_fmac_f32_e32 v87, v93, v52
	v_mul_f32_e32 v93, v94, v61
	v_fma_f32 v92, v94, v60, -v80
	v_mul_f32_e32 v80, v97, v55
	v_sub_f32_e32 v117, v84, v87
	v_fmac_f32_e32 v93, v95, v60
	v_mul_f32_e32 v95, v96, v55
	v_fma_f32 v94, v96, v54, -v80
	v_mul_f32_e32 v80, v99, v63
	v_fmac_f32_e32 v95, v97, v54
	v_mul_f32_e32 v97, v98, v63
	v_sub_f32_e32 v110, v83, v94
	v_fma_f32 v96, v98, v62, -v80
	v_mul_u32_u24_sdwa v80, v106, v100 dst_sel:DWORD dst_unused:UNUSED_PAD src0_sel:WORD_0 src1_sel:DWORD
	v_sub_f32_e32 v116, v88, v94
	v_fmac_f32_e32 v97, v99, v62
	v_sub_f32_e32 v99, v118, v119
	v_add_f32_e32 v88, v88, v94
	v_add_lshl_u32 v238, v80, v108, 3
	v_sub_f32_e32 v108, v82, v83
	v_add_f32_e32 v82, v102, v83
	v_add_f32_e32 v102, v103, v87
	v_sub_f32_e32 v103, v94, v83
	v_sub_f32_e32 v118, v89, v95
	;; [unrolled: 1-line block ×3, first 2 shown]
	v_add_f32_e32 v82, v82, v94
	v_add_f32_e32 v83, v102, v95
	;; [unrolled: 1-line block ×3, first 2 shown]
	v_sub_f32_e32 v102, v89, v84
	v_sub_f32_e32 v84, v84, v89
	v_add_f32_e32 v89, v89, v95
	v_sub_f32_e32 v87, v87, v95
	v_add_f32_e32 v95, v76, v90
	v_add_f32_e32 v106, v77, v91
	v_add_f32_e32 v80, v101, v123
	v_sub_f32_e32 v98, v120, v123
	v_sub_f32_e32 v100, v126, v124
	v_add_f32_e32 v95, v95, v85
	v_add_f32_e32 v106, v106, v86
	v_add_f32_e32 v80, v80, v124
	v_sub_f32_e32 v101, v122, v121
	;; [unrolled: 5-line block ×3, first 2 shown]
	v_sub_f32_e32 v90, v90, v96
	v_add_f32_e32 v122, v85, v92
	v_sub_f32_e32 v123, v85, v92
	v_sub_f32_e32 v85, v96, v92
	;; [unrolled: 1-line block ×3, first 2 shown]
	v_add_f32_e32 v106, v95, v96
	v_sub_f32_e32 v95, v86, v93
	v_add_f32_e32 v96, v86, v93
	v_sub_f32_e32 v124, v91, v86
	v_sub_f32_e32 v86, v86, v91
	;; [unrolled: 1-line block ×3, first 2 shown]
	v_add_f32_e32 v91, v91, v97
	v_add_f32_e32 v80, v80, v126
	;; [unrolled: 1-line block ×3, first 2 shown]
	v_sub_f32_e32 v126, v97, v93
	v_sub_f32_e32 v93, v93, v97
	v_add_f32_e32 v97, v98, v100
	v_add_f32_e32 v98, v99, v101
	;; [unrolled: 1-line block ×3, first 2 shown]
	v_fma_f32 v104, -0.5, v105, v74
	v_fma_f32 v105, -0.5, v94, v75
	;; [unrolled: 1-line block ×4, first 2 shown]
	v_add_f32_e32 v94, v102, v111
	v_add_f32_e32 v100, v109, v110
	;; [unrolled: 1-line block ×4, first 2 shown]
	v_fma_f32 v110, -0.5, v122, v76
	v_fma_f32 v76, -0.5, v120, v76
	;; [unrolled: 1-line block ×3, first 2 shown]
	v_fmac_f32_e32 v77, -0.5, v91
	v_fmamk_f32 v84, v113, 0x3f737871, v68
	v_fmac_f32_e32 v68, 0xbf737871, v113
	v_fmamk_f32 v85, v115, 0xbf737871, v69
	v_fmac_f32_e32 v69, 0x3f737871, v115
	v_fmamk_f32 v88, v118, 0x3f737871, v104
	v_fmamk_f32 v89, v116, 0xbf737871, v105
	v_add_f32_e32 v91, v86, v93
	v_fmamk_f32 v86, v117, 0xbf737871, v74
	v_fmac_f32_e32 v74, 0x3f737871, v117
	v_fmamk_f32 v87, v108, 0x3f737871, v75
	v_fmac_f32_e32 v75, 0xbf737871, v108
	v_fmac_f32_e32 v104, 0xbf737871, v118
	;; [unrolled: 1-line block ×7, first 2 shown]
	v_fmamk_f32 v112, v125, 0x3f737871, v110
	v_fmac_f32_e32 v110, 0xbf737871, v125
	v_fmamk_f32 v114, v95, 0xbf737871, v76
	v_fmac_f32_e32 v76, 0x3f737871, v95
	;; [unrolled: 2-line block ×4, first 2 shown]
	v_fmac_f32_e32 v88, 0x3f167918, v117
	v_fmac_f32_e32 v89, 0xbf167918, v108
	;; [unrolled: 1-line block ×8, first 2 shown]
	v_add_f32_e32 v92, v121, v92
	v_add_f32_e32 v96, v124, v126
	v_fmac_f32_e32 v112, 0x3f167918, v95
	v_fmac_f32_e32 v110, 0xbf167918, v95
	;; [unrolled: 1-line block ×28, first 2 shown]
	ds_write2_b64 v236, v[80:81], v[84:85] offset1:36
	ds_write_b64 v236, v[68:69] offset:1152
	ds_write2_b64 v238, v[82:83], v[88:89] offset1:36
	ds_write2_b64 v238, v[86:87], v[74:75] offset0:72 offset1:108
	ds_write_b64 v238, v[104:105] offset:1152
	ds_write2_b64 v237, v[106:107], v[112:113] offset1:36
	ds_write2_b64 v237, v[114:115], v[76:77] offset0:72 offset1:108
	ds_write_b64 v237, v[110:111] offset:1152
	s_waitcnt lgkmcnt(0)
	s_barrier
	buffer_gl0_inv
	ds_read2_b64 v[92:95], v71 offset0:104 offset1:167
	ds_read2_b64 v[124:127], v73 offset0:28 offset1:91
	;; [unrolled: 1-line block ×5, first 2 shown]
	ds_read2_b64 v[116:119], v199 offset1:63
	ds_read2_b64 v[100:103], v199 offset0:180 offset1:243
	s_and_saveexec_b32 s1, s0
	s_cbranch_execz .LBB0_11
; %bb.10:
	v_add_nc_u32_e32 v76, 0x1a00, v199
	v_add_nc_u32_e32 v77, 0x200, v199
	ds_read2_b64 v[108:111], v76 offset0:14 offset1:194
	v_add_nc_u32_e32 v76, 0xe00, v199
	ds_read_b64 v[138:139], v199 offset:9648
	ds_read2_b64 v[104:107], v77 offset0:62 offset1:242
	ds_read2_b64 v[112:115], v76 offset0:38 offset1:218
	s_waitcnt lgkmcnt(3)
	v_mov_b32_e32 v76, v108
	v_mov_b32_e32 v77, v109
.LBB0_11:
	s_or_b32 exec_lo, exec_lo, s1
	v_mad_u64_u32 v[201:202], null, v200, 48, s[14:15]
	v_add_co_u32 v84, s1, 0x1000, v201
	v_add_co_ci_u32_e64 v85, s1, 0, v202, s1
	v_add_co_u32 v203, s1, 0x1160, v201
	s_clause 0x2
	global_load_dwordx4 v[80:83], v[201:202], off offset:1424
	global_load_dwordx4 v[84:87], v[84:85], off offset:352
	;; [unrolled: 1-line block ×3, first 2 shown]
	v_add_co_ci_u32_e64 v204, s1, 0, v202, s1
	global_load_dwordx4 v[88:91], v[203:204], off offset:32
	s_waitcnt vmcnt(3) lgkmcnt(0)
	v_mul_f32_e32 v79, v101, v81
	v_mul_f32_e32 v205, v100, v81
	;; [unrolled: 1-line block ×3, first 2 shown]
	s_waitcnt vmcnt(2)
	v_mul_f32_e32 v240, v94, v87
	v_mul_f32_e32 v109, v103, v85
	v_fma_f32 v206, v100, v80, -v79
	v_mul_f32_e32 v79, v93, v83
	v_mul_f32_e32 v100, v95, v87
	v_fmac_f32_e32 v207, v93, v82
	v_fmac_f32_e32 v240, v95, v86
	v_mul_f32_e32 v108, v102, v85
	v_fma_f32 v208, v92, v82, -v79
	v_fma_f32 v241, v94, v86, -v100
	global_load_dwordx4 v[92:95], v[203:204], off offset:16
	v_fmac_f32_e32 v205, v101, v80
	v_fma_f32 v109, v102, v84, -v109
	v_fmac_f32_e32 v108, v103, v84
	global_load_dwordx4 v[100:103], v[201:202], off offset:1456
	s_waitcnt vmcnt(3)
	v_mul_f32_e32 v79, v125, v97
	v_mul_f32_e32 v203, v124, v97
	;; [unrolled: 1-line block ×3, first 2 shown]
	v_fma_f32 v204, v124, v96, -v79
	v_fmac_f32_e32 v203, v125, v96
	v_fmac_f32_e32 v202, v121, v98
	v_add_f32_e32 v248, v203, v202
	v_sub_f32_e32 v202, v202, v203
	s_waitcnt vmcnt(1)
	v_mul_f32_e32 v79, v127, v93
	v_mul_f32_e32 v125, v126, v93
	s_waitcnt vmcnt(0)
	v_mul_f32_e32 v210, v72, v101
	v_fma_f32 v124, v126, v92, -v79
	v_mul_f32_e32 v79, v121, v99
	v_mul_f32_e32 v121, v122, v95
	;; [unrolled: 1-line block ×3, first 2 shown]
	v_fmac_f32_e32 v125, v127, v92
	v_mul_f32_e32 v127, v70, v91
	v_fma_f32 v201, v120, v98, -v79
	v_mul_f32_e32 v79, v123, v95
	v_fmac_f32_e32 v212, v69, v102
	v_fmac_f32_e32 v121, v123, v94
	v_mul_f32_e32 v123, v74, v89
	v_fmac_f32_e32 v210, v73, v100
	v_fma_f32 v120, v122, v94, -v79
	v_mul_f32_e32 v79, v73, v101
	v_fmac_f32_e32 v127, v71, v90
	v_fmac_f32_e32 v123, v75, v88
	v_add_f32_e32 v244, v204, v201
	v_add_f32_e32 v246, v205, v212
	v_fma_f32 v209, v72, v100, -v79
	v_mul_f32_e32 v72, v75, v89
	v_add_f32_e32 v247, v207, v210
	v_add_f32_e32 v252, v124, v120
	;; [unrolled: 1-line block ×4, first 2 shown]
	v_fma_f32 v122, v74, v88, -v72
	v_mul_f32_e32 v72, v69, v103
	v_add_f32_e32 v198, v240, v123
	v_add_f32_e32 v255, v125, v121
	v_sub_f32_e32 v201, v201, v204
	v_add_f32_e32 v251, v241, v122
	v_fma_f32 v211, v68, v102, -v72
	v_mul_f32_e32 v68, v71, v91
	v_sub_f32_e32 v204, v205, v212
	v_sub_f32_e32 v120, v120, v124
	;; [unrolled: 1-line block ×3, first 2 shown]
	v_add_f32_e32 v242, v206, v211
	v_fma_f32 v126, v70, v90, -v68
	v_subrev_nc_u32_e32 v68, 54, v200
	v_sub_f32_e32 v203, v206, v211
	v_sub_f32_e32 v206, v244, v243
	;; [unrolled: 1-line block ×3, first 2 shown]
	v_add_f32_e32 v250, v109, v126
	v_cndmask_b32_e64 v68, v68, v78, s0
	v_sub_f32_e32 v124, v252, v251
	v_sub_f32_e32 v125, v250, v252
	v_mul_i32_i24_e32 v69, 48, v68
	v_mul_hi_i32_i24_e32 v68, 48, v68
	v_mul_f32_e32 v125, 0x3f4a47b2, v125
	v_add_co_u32 v78, s1, s14, v69
	v_add_co_ci_u32_e64 v79, s1, s15, v68, s1
	s_clause 0x1
	global_load_dwordx4 v[68:71], v[78:79], off offset:1424
	global_load_dwordx4 v[72:75], v[78:79], off offset:1440
	s_waitcnt vmcnt(1)
	v_mul_f32_e32 v213, v113, v71
	v_mul_f32_e32 v214, v112, v71
	s_waitcnt vmcnt(0)
	v_mul_f32_e32 v218, v76, v75
	v_mul_f32_e32 v216, v114, v73
	;; [unrolled: 1-line block ×3, first 2 shown]
	v_fma_f32 v213, v112, v70, -v213
	v_mul_f32_e32 v112, v115, v73
	v_fmac_f32_e32 v218, v77, v74
	v_fmac_f32_e32 v216, v115, v72
	;; [unrolled: 1-line block ×4, first 2 shown]
	v_fma_f32 v215, v114, v72, -v112
	v_mul_f32_e32 v112, v77, v75
	v_add_f32_e32 v223, v216, v218
	v_fma_f32 v217, v76, v74, -v112
	global_load_dwordx4 v[76:79], v[78:79], off offset:1456
	v_add_f32_e32 v195, v215, v217
	s_waitcnt vmcnt(0)
	v_mul_f32_e32 v112, v111, v77
	v_mul_f32_e32 v220, v110, v77
	v_fma_f32 v219, v110, v76, -v112
	v_add_f32_e32 v110, v243, v242
	v_fmac_f32_e32 v220, v111, v76
	v_add_f32_e32 v111, v213, v219
	v_add_f32_e32 v245, v244, v110
	;; [unrolled: 1-line block ×7, first 2 shown]
	v_fmamk_f32 v245, v245, 0xbf955555, v114
	v_add_f32_e32 v115, v117, v249
	v_add_f32_e32 v253, v252, v110
	;; [unrolled: 1-line block ×3, first 2 shown]
	v_fmamk_f32 v249, v249, 0xbf955555, v115
	v_add_f32_e32 v117, v118, v253
	v_add_f32_e32 v239, v255, v110
	v_mul_f32_e32 v110, v139, v79
	v_add_f32_e32 v118, v119, v239
	v_fma_f32 v116, v138, v78, -v110
	v_mul_f32_e32 v110, v107, v69
	v_mul_f32_e32 v119, v138, v79
	v_sub_f32_e32 v107, v207, v210
	v_sub_f32_e32 v207, v247, v246
	v_fma_f32 v193, v106, v68, -v110
	v_fmac_f32_e32 v119, v139, v78
	v_sub_f32_e32 v210, v202, v107
	v_sub_f32_e32 v211, v107, v204
	v_add_f32_e32 v110, v193, v116
	v_add_f32_e32 v112, v194, v119
	v_mul_f32_e32 v210, 0xbf08b237, v210
	v_add_f32_e32 v106, v111, v110
	v_add_f32_e32 v228, v195, v106
	;; [unrolled: 1-line block ×5, first 2 shown]
	v_sub_f32_e32 v106, v208, v209
	v_sub_f32_e32 v208, v248, v247
	v_add_f32_e32 v105, v105, v224
	v_add_f32_e32 v138, v201, v106
	v_sub_f32_e32 v139, v201, v106
	v_sub_f32_e32 v209, v106, v203
	v_add_f32_e32 v106, v202, v107
	v_mul_f32_e32 v107, 0x3d64c772, v208
	v_add_f32_e32 v212, v138, v203
	v_mul_f32_e32 v247, 0xbf08b237, v139
	v_fma_f32 v138, 0x3f5ff5aa, v211, -v210
	v_add_f32_e32 v243, v106, v204
	v_mul_f32_e32 v106, 0x3d64c772, v206
	v_fma_f32 v107, 0x3f3bfb3b, v207, -v107
	v_fma_f32 v139, 0x3f5ff5aa, v209, -v247
	v_fmac_f32_e32 v138, 0x3ee1c552, v243
	v_fma_f32 v106, 0x3f3bfb3b, v205, -v106
	v_add_f32_e32 v229, v107, v249
	v_fmac_f32_e32 v139, 0x3ee1c552, v212
	v_add_f32_e32 v225, v106, v245
	v_add_f32_e32 v107, v139, v229
	v_sub_f32_e32 v139, v229, v139
	v_sub_f32_e32 v229, v246, v248
	;; [unrolled: 1-line block ×3, first 2 shown]
	v_add_f32_e32 v138, v138, v225
	v_sub_f32_e32 v225, v242, v244
	v_sub_f32_e32 v242, v203, v201
	;; [unrolled: 1-line block ×3, first 2 shown]
	v_mul_f32_e32 v201, 0x3f5ff5aa, v209
	v_mul_f32_e32 v202, 0x3f5ff5aa, v211
	;; [unrolled: 1-line block ×4, first 2 shown]
	v_fmamk_f32 v225, v242, 0x3eae86e6, v247
	v_fma_f32 v204, 0xbeae86e6, v242, -v201
	v_fma_f32 v203, 0xbeae86e6, v244, -v202
	;; [unrolled: 1-line block ×4, first 2 shown]
	v_fmac_f32_e32 v225, 0x3ee1c552, v212
	v_fmac_f32_e32 v204, 0x3ee1c552, v212
	;; [unrolled: 1-line block ×3, first 2 shown]
	v_add_f32_e32 v205, v201, v245
	v_add_f32_e32 v207, v202, v249
	;; [unrolled: 1-line block ×3, first 2 shown]
	v_sub_f32_e32 v202, v207, v204
	v_sub_f32_e32 v203, v205, v203
	v_add_f32_e32 v204, v204, v207
	v_fmamk_f32 v207, v244, 0x3eae86e6, v210
	v_fmamk_f32 v205, v206, 0x3d64c772, v209
	;; [unrolled: 1-line block ×3, first 2 shown]
	v_fmac_f32_e32 v207, 0x3ee1c552, v243
	v_add_f32_e32 v208, v205, v245
	v_add_f32_e32 v209, v206, v249
	;; [unrolled: 1-line block ×3, first 2 shown]
	v_sub_f32_e32 v206, v209, v225
	v_sub_f32_e32 v207, v208, v207
	v_add_f32_e32 v208, v225, v209
	ds_write_b64 v199, v[205:206] offset:1440
	ds_write_b64 v199, v[201:202] offset:2880
	;; [unrolled: 1-line block ×6, first 2 shown]
	ds_write2_b64 v199, v[114:115], v[117:118] offset1:63
	v_sub_f32_e32 v106, v109, v126
	v_sub_f32_e32 v107, v108, v127
	;; [unrolled: 1-line block ×8, first 2 shown]
	v_add_f32_e32 v119, v120, v108
	v_sub_f32_e32 v193, v120, v108
	v_sub_f32_e32 v108, v108, v106
	v_add_f32_e32 v198, v121, v122
	v_sub_f32_e32 v138, v254, v255
	v_sub_f32_e32 v120, v106, v120
	;; [unrolled: 3-line block ×3, first 2 shown]
	v_sub_f32_e32 v121, v107, v121
	v_add_f32_e32 v107, v198, v107
	v_mul_f32_e32 v193, 0xbf08b237, v193
	v_mul_f32_e32 v198, 0x3f5ff5aa, v108
	v_sub_f32_e32 v123, v251, v250
	v_mul_f32_e32 v119, 0xbf08b237, v119
	v_fmamk_f32 v201, v253, 0xbf955555, v117
	v_fmamk_f32 v202, v239, 0xbf955555, v118
	v_mul_f32_e32 v117, 0x3d64c772, v124
	v_mul_f32_e32 v118, 0x3f5ff5aa, v122
	v_fma_f32 v108, 0x3f5ff5aa, v108, -v193
	v_fma_f32 v198, 0xbeae86e6, v120, -v198
	v_fmamk_f32 v120, v120, 0x3eae86e6, v193
	v_mul_f32_e32 v193, 0x3d64c772, v127
	v_mul_f32_e32 v138, 0x3f4a47b2, v138
	v_fma_f32 v122, 0x3f5ff5aa, v122, -v119
	v_fma_f32 v205, 0xbeae86e6, v121, -v118
	v_fmamk_f32 v119, v121, 0x3eae86e6, v119
	v_sub_f32_e32 v209, v110, v195
	v_sub_f32_e32 v118, v195, v111
	v_fma_f32 v195, 0x3f3bfb3b, v123, -v117
	v_fma_f32 v123, 0xbf3bfb3b, v123, -v125
	;; [unrolled: 1-line block ×4, first 2 shown]
	v_fmamk_f32 v124, v124, 0x3d64c772, v125
	v_sub_f32_e32 v125, v112, v223
	v_fmamk_f32 v127, v127, 0x3d64c772, v138
	v_fmac_f32_e32 v108, 0x3ee1c552, v106
	v_fmac_f32_e32 v198, 0x3ee1c552, v106
	;; [unrolled: 1-line block ×6, first 2 shown]
	v_add_f32_e32 v106, v195, v201
	v_add_f32_e32 v107, v193, v202
	;; [unrolled: 1-line block ×4, first 2 shown]
	v_sub_f32_e32 v121, v223, v113
	v_add_f32_e32 v124, v124, v201
	v_add_f32_e32 v127, v127, v202
	v_sub_f32_e32 v201, v106, v122
	v_add_f32_e32 v202, v108, v107
	v_add_f32_e32 v203, v122, v106
	v_sub_f32_e32 v204, v107, v108
	v_add_f32_e32 v106, v205, v123
	v_sub_f32_e32 v107, v126, v198
	v_mul_f32_e32 v241, 0x3f4a47b2, v125
	v_sub_f32_e32 v205, v123, v205
	v_add_f32_e32 v122, v119, v124
	v_sub_f32_e32 v123, v127, v120
	v_add_f32_e32 v208, v120, v127
	ds_write_b64 v199, v[106:107] offset:3384
	v_fmamk_f32 v106, v121, 0x3d64c772, v241
	v_fmamk_f32 v127, v224, 0xbf955555, v105
	ds_write_b64 v199, v[122:123] offset:1944
	v_sub_f32_e32 v116, v213, v219
	v_sub_f32_e32 v139, v217, v215
	;; [unrolled: 1-line block ×3, first 2 shown]
	v_add_f32_e32 v123, v106, v127
	buffer_load_dword v106, off, s[20:23], 0 offset:96 ; 4-byte Folded Reload
	v_sub_f32_e32 v114, v214, v220
	v_add_f32_e32 v138, v139, v116
	v_sub_f32_e32 v117, v139, v116
	v_sub_f32_e32 v139, v115, v139
	;; [unrolled: 1-line block ×3, first 2 shown]
	v_add_f32_e32 v210, v194, v114
	v_add_f32_e32 v206, v198, v126
	v_sub_f32_e32 v207, v124, v119
	v_sub_f32_e32 v124, v194, v114
	v_add_f32_e32 v242, v138, v115
	v_mul_f32_e32 v138, 0x3eae86e6, v139
	v_mul_f32_e32 v126, 0x3eae86e6, v108
	;; [unrolled: 1-line block ×3, first 2 shown]
	v_add_f32_e32 v240, v210, v109
	v_fmamk_f32 v125, v228, 0xbf955555, v104
	v_fmamk_f32 v119, v117, 0xbf08b237, v138
	;; [unrolled: 1-line block ×4, first 2 shown]
	v_add_nc_u32_e32 v107, 0x1b9, v200
	ds_write_b64 v199, v[201:202] offset:4824
	v_fmac_f32_e32 v119, 0x3ee1c552, v242
	v_fmac_f32_e32 v120, 0x3ee1c552, v240
	v_add_f32_e32 v122, v108, v125
	v_lshlrev_b32_e32 v107, 4, v107
	ds_write_b64 v199, v[203:204] offset:6264
	ds_write_b64 v199, v[205:206] offset:7704
	ds_write_b64 v199, v[207:208] offset:9144
	v_add_f32_e32 v194, v119, v123
	v_sub_f32_e32 v193, v122, v120
	s_waitcnt vmcnt(0)
	v_lshlrev_b32_e32 v108, 3, v106
	v_add_nc_u32_e32 v106, 0x237, v200
	v_lshlrev_b32_e32 v106, 4, v106
	s_and_saveexec_b32 s1, s0
	s_cbranch_execz .LBB0_13
; %bb.12:
	v_mul_f32_e32 v118, 0x3d64c772, v118
	v_mul_f32_e32 v121, 0x3d64c772, v121
	v_sub_f32_e32 v115, v116, v115
	v_sub_f32_e32 v112, v113, v112
	;; [unrolled: 1-line block ×3, first 2 shown]
	v_mul_f32_e32 v113, 0xbf08b237, v117
	v_sub_f32_e32 v109, v114, v109
	v_mul_f32_e32 v114, 0xbf08b237, v124
	v_mul_f32_e32 v195, 0x3ee1c552, v242
	;; [unrolled: 1-line block ×3, first 2 shown]
	v_fma_f32 v116, 0xbf5ff5aa, v115, -v138
	v_fma_f32 v117, 0xbf3bfb3b, v112, -v241
	;; [unrolled: 1-line block ×8, first 2 shown]
	v_add_f32_e32 v116, v195, v116
	v_add_f32_e32 v117, v117, v127
	;; [unrolled: 1-line block ×9, first 2 shown]
	v_sub_f32_e32 v112, v114, v113
	v_add_f32_e32 v111, v118, v121
	v_add_f32_e32 v114, v113, v114
	v_sub_f32_e32 v113, v121, v118
	v_sub_f32_e32 v116, v117, v116
	;; [unrolled: 1-line block ×3, first 2 shown]
	v_add_f32_e32 v117, v120, v122
	v_add_nc_u32_e32 v119, 0x200, v199
	v_sub_f32_e32 v109, v124, v115
	v_add_f32_e32 v115, v115, v124
	v_add_nc_u32_e32 v120, 0xe00, v199
	v_add_nc_u32_e32 v121, 0x1a00, v199
	ds_write2_b64 v119, v[104:105], v[117:118] offset0:62 offset1:242
	ds_write2_b64 v120, v[115:116], v[113:114] offset0:38 offset1:218
	;; [unrolled: 1-line block ×3, first 2 shown]
	ds_write_b64 v199, v[193:194] offset:9648
.LBB0_13:
	s_or_b32 exec_lo, exec_lo, s1
	v_lshlrev_b32_e32 v104, 3, v200
	s_waitcnt lgkmcnt(0)
	s_barrier
	buffer_gl0_inv
	v_add_nc_u32_e32 v223, 0x1400, v199
	v_add_co_u32 v195, s1, s12, v104
	v_add_co_ci_u32_e64 v198, null, s13, 0, s1
	v_add_co_u32 v104, s1, 0x2000, v195
	v_add_co_ci_u32_e64 v105, s1, 0, v198, s1
	v_add_co_u32 v109, s1, 0x2760, v195
	v_add_co_ci_u32_e64 v110, s1, 0, v198, s1
	global_load_dwordx2 v[104:105], v[104:105], off offset:1888
	v_add_co_u32 v115, s1, 0x3800, v195
	global_load_dwordx2 v[113:114], v[109:110], off offset:504
	v_add_co_ci_u32_e64 v116, s1, 0, v198, s1
	s_clause 0x3
	global_load_dwordx2 v[125:126], v[115:116], off offset:784
	global_load_dwordx2 v[138:139], v[115:116], off offset:1288
	;; [unrolled: 1-line block ×4, first 2 shown]
	v_add_co_u32 v205, s1, 0x4000, v195
	v_add_co_ci_u32_e64 v206, s1, 0, v198, s1
	s_clause 0x2
	global_load_dwordx2 v[207:208], v[115:116], off offset:1792
	global_load_dwordx2 v[209:210], v[205:206], off offset:248
	;; [unrolled: 1-line block ×3, first 2 shown]
	ds_read2_b64 v[109:112], v199 offset1:63
	v_add_co_u32 v213, s1, 0x3000, v195
	v_add_co_ci_u32_e64 v214, s1, 0, v198, s1
	s_clause 0x1
	global_load_dwordx2 v[215:216], v[115:116], off offset:280
	global_load_dwordx2 v[217:218], v[213:214], off offset:312
	v_add_nc_u32_e32 v116, 0x1000, v199
	s_waitcnt vmcnt(10) lgkmcnt(0)
	v_mul_f32_e32 v115, v110, v105
	v_mul_f32_e32 v118, v109, v105
	v_fma_f32 v117, v109, v104, -v115
	v_fmac_f32_e32 v118, v110, v104
	s_waitcnt vmcnt(9)
	v_mul_f32_e32 v104, v112, v114
	v_mul_f32_e32 v115, v111, v114
	ds_write_b64 v199, v[117:118]
	ds_read2_b64 v[117:120], v116 offset0:118 offset1:181
	ds_read2_b64 v[121:124], v199 offset0:126 offset1:189
	v_fma_f32 v114, v111, v113, -v104
	v_fmac_f32_e32 v115, v112, v113
	ds_read2_b64 v[109:112], v223 offset0:116 offset1:179
	s_waitcnt vmcnt(8) lgkmcnt(2)
	v_mul_f32_e32 v104, v118, v126
	v_mul_f32_e32 v127, v117, v126
	s_waitcnt vmcnt(7)
	v_mul_f32_e32 v220, v119, v139
	v_mul_f32_e32 v105, v120, v139
	s_waitcnt vmcnt(5) lgkmcnt(1)
	v_mul_f32_e32 v139, v123, v204
	v_fma_f32 v126, v117, v125, -v104
	v_fmac_f32_e32 v127, v118, v125
	global_load_dwordx2 v[117:118], v[205:206], off offset:752
	v_fmac_f32_e32 v220, v120, v138
	v_mul_f32_e32 v104, v122, v202
	v_mul_f32_e32 v120, v121, v202
	v_fma_f32 v219, v119, v138, -v105
	v_mul_f32_e32 v105, v124, v204
	v_fmac_f32_e32 v139, v124, v203
	v_fma_f32 v119, v121, v201, -v104
	v_fmac_f32_e32 v120, v122, v201
	global_load_dwordx2 v[121:122], v[205:206], off offset:1256
	s_waitcnt vmcnt(6) lgkmcnt(0)
	v_mul_f32_e32 v104, v110, v208
	v_fma_f32 v138, v123, v203, -v105
	global_load_dwordx2 v[203:204], v[213:214], off offset:816
	v_mul_f32_e32 v124, v109, v208
	s_waitcnt vmcnt(6)
	v_mul_f32_e32 v105, v112, v210
	v_mul_f32_e32 v202, v111, v210
	v_fma_f32 v123, v109, v207, -v104
	v_add_nc_u32_e32 v104, 0x400, v199
	v_fmac_f32_e32 v124, v110, v207
	v_fma_f32 v201, v111, v209, -v105
	v_fmac_f32_e32 v202, v112, v209
	ds_read2_b64 v[109:112], v104 offset0:124 offset1:187
	s_clause 0x1
	global_load_dwordx2 v[209:210], v[213:214], off offset:1320
	global_load_dwordx2 v[205:206], v[205:206], off offset:1760
	s_waitcnt vmcnt(7) lgkmcnt(0)
	v_mul_f32_e32 v105, v110, v212
	v_mul_f32_e32 v208, v109, v212
	s_waitcnt vmcnt(5)
	v_mul_f32_e32 v212, v111, v218
	v_fma_f32 v207, v109, v211, -v105
	v_mul_f32_e32 v105, v112, v218
	v_fmac_f32_e32 v208, v110, v211
	v_fmac_f32_e32 v212, v112, v217
	v_fma_f32 v211, v111, v217, -v105
	v_add_nc_u32_e32 v105, 0x1800, v199
	ds_read2_b64 v[109:112], v105 offset0:114 offset1:177
	s_waitcnt vmcnt(4) lgkmcnt(0)
	v_mul_f32_e32 v113, v110, v118
	v_mul_f32_e32 v218, v109, v118
	v_fma_f32 v217, v109, v117, -v113
	v_fmac_f32_e32 v218, v110, v117
	s_waitcnt vmcnt(3)
	v_mul_f32_e32 v109, v112, v122
	v_mul_f32_e32 v240, v111, v122
	v_fma_f32 v239, v111, v121, -v109
	v_add_nc_u32_e32 v109, 0x800, v199
	v_fmac_f32_e32 v240, v112, v121
	ds_read2_b64 v[110:113], v109 offset0:122 offset1:185
	s_waitcnt vmcnt(2) lgkmcnt(0)
	v_mul_f32_e32 v117, v111, v204
	v_mul_f32_e32 v122, v110, v204
	s_waitcnt vmcnt(1)
	v_mul_f32_e32 v204, v112, v210
	v_fma_f32 v121, v110, v203, -v117
	v_mul_f32_e32 v110, v113, v210
	v_add_nc_u32_e32 v117, 0x1c00, v199
	v_fmac_f32_e32 v122, v111, v203
	v_fmac_f32_e32 v204, v113, v209
	v_fma_f32 v203, v112, v209, -v110
	ds_read2_b64 v[110:113], v117 offset0:112 offset1:175
	s_waitcnt vmcnt(0) lgkmcnt(0)
	v_mul_f32_e32 v118, v111, v206
	v_mul_f32_e32 v210, v110, v206
	v_fma_f32 v209, v110, v205, -v118
	v_add_co_u32 v110, s1, 0x4800, v195
	v_fmac_f32_e32 v210, v111, v205
	v_add_co_ci_u32_e64 v111, s1, 0, v198, s1
	s_clause 0x3
	global_load_dwordx2 v[205:206], v[110:111], off offset:216
	global_load_dwordx2 v[241:242], v[110:111], off offset:720
	global_load_dwordx2 v[243:244], v[110:111], off offset:1224
	global_load_dwordx2 v[213:214], v[213:214], off offset:1824
	v_add_nc_u32_e32 v195, 0xc00, v199
	s_waitcnt vmcnt(3)
	v_mul_f32_e32 v110, v113, v206
	v_mul_f32_e32 v246, v112, v206
	v_fma_f32 v245, v112, v205, -v110
	v_fmac_f32_e32 v246, v113, v205
	ds_read2_b64 v[110:113], v195 offset0:120 offset1:183
	s_waitcnt vmcnt(0) lgkmcnt(0)
	v_mul_f32_e32 v118, v111, v214
	v_mul_f32_e32 v206, v110, v214
	v_mul_f32_e32 v214, v112, v216
	v_fma_f32 v205, v110, v213, -v118
	v_mul_f32_e32 v110, v113, v216
	v_add_nc_u32_e32 v118, 0x2000, v199
	v_fmac_f32_e32 v206, v111, v213
	v_fmac_f32_e32 v214, v113, v215
	v_fma_f32 v213, v112, v215, -v110
	ds_read2_b64 v[110:113], v118 offset0:110 offset1:173
	s_waitcnt lgkmcnt(0)
	v_mul_f32_e32 v125, v111, v242
	v_mul_f32_e32 v216, v110, v242
	v_fma_f32 v215, v110, v241, -v125
	v_fmac_f32_e32 v216, v111, v241
	v_mul_f32_e32 v110, v113, v244
	v_mul_f32_e32 v111, v112, v244
	v_fma_f32 v110, v112, v243, -v110
	v_fmac_f32_e32 v111, v113, v243
	ds_write2_b64 v199, v[114:115], v[119:120] offset0:63 offset1:126
	ds_write2_b64 v116, v[219:220], v[123:124] offset0:181 offset1:244
	;; [unrolled: 1-line block ×9, first 2 shown]
	ds_write_b64 v199, v[110:111] offset:9576
	s_waitcnt lgkmcnt(0)
	s_barrier
	buffer_gl0_inv
	ds_read2_b64 v[110:113], v199 offset1:63
	ds_read2_b64 v[119:122], v116 offset0:118 offset1:181
	ds_read2_b64 v[123:126], v199 offset0:126 offset1:189
	;; [unrolled: 1-line block ×9, first 2 shown]
	s_waitcnt lgkmcnt(0)
	s_barrier
	buffer_gl0_inv
	v_sub_f32_e32 v245, v110, v119
	v_sub_f32_e32 v246, v111, v120
	v_sub_f32_e32 v114, v112, v121
	v_sub_f32_e32 v115, v113, v122
	v_sub_f32_e32 v121, v125, v241
	v_fma_f32 v243, v110, 2.0, -v245
	v_fma_f32 v244, v111, 2.0, -v246
	v_lshlrev_b32_e32 v110, 4, v200
	v_fma_f32 v112, v112, 2.0, -v114
	v_fma_f32 v113, v113, 2.0, -v115
	v_sub_f32_e32 v122, v126, v242
	v_fma_f32 v119, v125, 2.0, -v121
	ds_write_b128 v110, v[243:246]
	buffer_load_dword v110, off, s[20:23], 0 offset:52 ; 4-byte Folded Reload
	v_sub_f32_e32 v241, v247, v251
	v_fma_f32 v120, v126, 2.0, -v122
	v_sub_f32_e32 v242, v248, v252
	v_sub_f32_e32 v245, v249, v253
	;; [unrolled: 1-line block ×6, first 2 shown]
	v_fma_f32 v243, v249, 2.0, -v245
	v_fma_f32 v244, v250, 2.0, -v246
	v_sub_f32_e32 v206, v204, v208
	v_sub_f32_e32 v219, v209, v213
	;; [unrolled: 1-line block ×5, first 2 shown]
	v_fma_f32 v249, v201, 2.0, -v251
	v_fma_f32 v250, v202, 2.0, -v252
	;; [unrolled: 1-line block ×8, first 2 shown]
	s_waitcnt vmcnt(0)
	ds_write_b128 v110, v[112:115]
	buffer_load_dword v114, off, s[20:23], 0 offset:32 ; 4-byte Folded Reload
	v_sub_f32_e32 v112, v123, v239
	v_sub_f32_e32 v113, v124, v240
	v_fma_f32 v239, v247, 2.0, -v241
	v_fma_f32 v240, v248, 2.0, -v242
	v_fma_f32 v110, v123, 2.0, -v112
	v_fma_f32 v111, v124, 2.0, -v113
	s_waitcnt vmcnt(0)
	ds_write_b128 v114, v[110:113]
	buffer_load_dword v110, off, s[20:23], 0 offset:20 ; 4-byte Folded Reload
	s_waitcnt vmcnt(0)
	ds_write_b128 v110, v[119:122]
	buffer_load_dword v110, off, s[20:23], 0 offset:12 ; 4-byte Folded Reload
	;; [unrolled: 3-line block ×4, first 2 shown]
	s_waitcnt vmcnt(0)
	ds_write_b128 v110, v[249:252]
	ds_write_b128 v107, v[203:206]
	;; [unrolled: 1-line block ×4, first 2 shown]
	s_waitcnt lgkmcnt(0)
	s_barrier
	buffer_gl0_inv
	ds_read2_b64 v[110:113], v116 offset0:118 offset1:181
	ds_read2_b64 v[119:122], v223 offset0:116 offset1:179
	;; [unrolled: 1-line block ×3, first 2 shown]
	ds_read2_b64 v[201:204], v199 offset1:63
	ds_read2_b64 v[205:208], v199 offset0:126 offset1:189
	ds_read2_b64 v[209:212], v117 offset0:112 offset1:175
	ds_read2_b64 v[213:216], v104 offset0:124 offset1:187
	ds_read2_b64 v[217:220], v118 offset0:110 offset1:173
	ds_read2_b64 v[239:242], v109 offset0:122 offset1:185
	ds_read2_b64 v[243:246], v195 offset0:120 offset1:183
	s_waitcnt lgkmcnt(0)
	s_barrier
	buffer_gl0_inv
	v_mul_f32_e32 v106, v129, v111
	v_mul_f32_e32 v108, v131, v113
	;; [unrolled: 1-line block ×5, first 2 shown]
	v_fmac_f32_e32 v106, v128, v110
	v_mul_f32_e32 v110, v137, v121
	v_fmac_f32_e32 v108, v197, v112
	v_fma_f32 v112, v197, v113, -v107
	v_fma_f32 v107, v128, v111, -v114
	v_mul_f32_e32 v137, v135, v126
	v_mul_f32_e32 v111, v135, v125
	;; [unrolled: 1-line block ×3, first 2 shown]
	v_fmac_f32_e32 v131, v136, v121
	v_fma_f32 v121, v136, v122, -v110
	v_mul_f32_e32 v110, v129, v123
	v_mul_f32_e32 v115, v129, v120
	v_fmac_f32_e32 v135, v128, v123
	v_mul_f32_e32 v127, v129, v119
	v_mul_f32_e32 v136, v133, v212
	v_fma_f32 v123, v128, v124, -v110
	v_sub_f32_e32 v110, v203, v108
	buffer_load_dword v108, off, s[20:23], 0 ; 4-byte Folded Reload
	v_fmac_f32_e32 v115, v128, v119
	v_fma_f32 v113, v128, v120, -v127
	v_mul_f32_e32 v114, v133, v211
	v_mul_f32_e32 v127, v129, v210
	;; [unrolled: 1-line block ×4, first 2 shown]
	v_fma_f32 v122, v134, v126, -v111
	v_mul_f32_e32 v111, v129, v217
	v_mul_f32_e32 v129, v196, v220
	;; [unrolled: 1-line block ×3, first 2 shown]
	v_sub_f32_e32 v106, v201, v106
	v_sub_f32_e32 v107, v202, v107
	v_fmac_f32_e32 v127, v128, v209
	v_fmac_f32_e32 v129, v130, v219
	v_fma_f32 v130, v130, v220, -v120
	v_fma_f32 v124, v128, v210, -v119
	v_fmac_f32_e32 v133, v128, v217
	v_fma_f32 v128, v128, v218, -v111
	v_sub_f32_e32 v197, v245, v129
	v_sub_f32_e32 v198, v246, v130
	v_fma_f32 v129, v201, 2.0, -v106
	v_fma_f32 v130, v202, 2.0, -v107
	v_sub_f32_e32 v111, v204, v112
	v_fmac_f32_e32 v136, v132, v211
	v_fma_f32 v126, v132, v212, -v114
	v_sub_f32_e32 v114, v207, v131
	v_fma_f32 v131, v203, 2.0, -v110
	v_fma_f32 v132, v204, 2.0, -v111
	v_sub_f32_e32 v112, v205, v115
	v_sub_f32_e32 v113, v206, v113
	v_fmac_f32_e32 v137, v134, v125
	v_sub_f32_e32 v120, v214, v123
	v_sub_f32_e32 v123, v239, v127
	;; [unrolled: 1-line block ×3, first 2 shown]
	v_fma_f32 v133, v205, 2.0, -v112
	v_fma_f32 v134, v206, 2.0, -v113
	v_sub_f32_e32 v115, v208, v121
	v_sub_f32_e32 v119, v213, v135
	;; [unrolled: 1-line block ×3, first 2 shown]
	v_fma_f32 v135, v207, 2.0, -v114
	v_sub_f32_e32 v121, v215, v137
	v_fma_f32 v136, v208, 2.0, -v115
	v_fma_f32 v137, v213, 2.0, -v119
	;; [unrolled: 1-line block ×3, first 2 shown]
	v_sub_f32_e32 v122, v216, v122
	v_fma_f32 v201, v215, 2.0, -v121
	v_sub_f32_e32 v124, v240, v124
	v_fma_f32 v203, v239, 2.0, -v123
	;; [unrolled: 2-line block ×3, first 2 shown]
	v_fma_f32 v205, v241, 2.0, -v125
	v_fma_f32 v204, v240, 2.0, -v124
	v_sub_f32_e32 v128, v244, v128
	v_fma_f32 v206, v242, 2.0, -v126
	v_fma_f32 v207, v243, 2.0, -v127
	;; [unrolled: 1-line block ×5, first 2 shown]
	s_waitcnt vmcnt(0)
	ds_write2_b64 v108, v[129:130], v[106:107] offset1:2
	buffer_load_dword v106, off, s[20:23], 0 offset:48 ; 4-byte Folded Reload
	s_waitcnt vmcnt(0)
	ds_write2_b64 v106, v[131:132], v[110:111] offset1:2
	buffer_load_dword v106, off, s[20:23], 0 offset:44 ; 4-byte Folded Reload
	;; [unrolled: 3-line block ×9, first 2 shown]
	s_waitcnt vmcnt(0)
	ds_write2_b64 v106, v[195:196], v[197:198] offset1:2
	s_waitcnt lgkmcnt(0)
	s_barrier
	buffer_gl0_inv
	ds_read2_b64 v[112:115], v199 offset1:63
	ds_read2_b64 v[136:139], v109 offset0:164 offset1:227
	ds_read2_b64 v[132:135], v105 offset0:72 offset1:135
	;; [unrolled: 1-line block ×8, first 2 shown]
	s_and_saveexec_b32 s1, vcc_lo
	s_cbranch_execz .LBB0_15
; %bb.14:
	ds_read_b64 v[195:196], v199 offset:3024
	ds_read_b64 v[197:198], v199 offset:6384
	;; [unrolled: 1-line block ×3, first 2 shown]
.LBB0_15:
	s_or_b32 exec_lo, exec_lo, s1
	s_waitcnt lgkmcnt(7)
	v_mul_f32_e32 v201, v1, v137
	v_mul_f32_e32 v202, v1, v136
	s_waitcnt lgkmcnt(6)
	v_mul_f32_e32 v203, v3, v133
	v_mul_f32_e32 v204, v3, v132
	s_waitcnt lgkmcnt(0)
	v_fmac_f32_e32 v201, v0, v136
	v_fma_f32 v136, v0, v137, -v202
	v_mul_f32_e32 v137, v188, v139
	v_fmac_f32_e32 v203, v2, v132
	v_mul_f32_e32 v132, v188, v138
	v_mul_f32_e32 v188, v186, v135
	v_fma_f32 v133, v2, v133, -v204
	v_fmac_f32_e32 v137, v227, v138
	v_mul_f32_e32 v138, v186, v134
	v_fma_f32 v132, v227, v139, -v132
	v_fmac_f32_e32 v188, v190, v134
	v_mul_f32_e32 v134, v184, v128
	v_mul_f32_e32 v139, v184, v129
	v_fma_f32 v135, v190, v135, -v138
	v_mul_f32_e32 v138, v182, v125
	v_mul_f32_e32 v186, v222, v119
	v_fma_f32 v129, v226, v129, -v134
	v_mul_f32_e32 v134, v5, v131
	v_fmac_f32_e32 v139, v226, v128
	v_mul_f32_e32 v128, v182, v124
	v_mul_f32_e32 v5, v5, v130
	v_fmac_f32_e32 v138, v192, v124
	v_fmac_f32_e32 v134, v4, v130
	v_mul_f32_e32 v130, v1, v121
	v_mul_f32_e32 v1, v1, v120
	v_fma_f32 v124, v192, v125, -v128
	v_fma_f32 v128, v4, v131, -v5
	v_mul_f32_e32 v182, v189, v123
	v_fmac_f32_e32 v130, v0, v120
	v_fma_f32 v131, v0, v121, -v1
	v_mul_f32_e32 v1, v222, v118
	v_mul_f32_e32 v0, v189, v122
	v_fmac_f32_e32 v186, v185, v118
	v_mul_f32_e32 v190, v221, v194
	v_mul_f32_e32 v125, v7, v127
	v_fma_f32 v185, v185, v119, -v1
	v_mul_f32_e32 v1, v221, v193
	v_mul_f32_e32 v7, v7, v126
	v_fmac_f32_e32 v182, v187, v122
	v_fma_f32 v187, v187, v123, -v0
	v_mul_f32_e32 v189, v191, v198
	v_mul_f32_e32 v0, v191, v197
	v_fmac_f32_e32 v190, v181, v193
	v_fma_f32 v181, v181, v194, -v1
	v_add_f32_e32 v1, v136, v133
	v_fmac_f32_e32 v125, v6, v126
	v_fma_f32 v126, v6, v127, -v7
	v_mul_f32_e32 v127, v3, v117
	v_mul_f32_e32 v3, v3, v116
	v_fmac_f32_e32 v189, v183, v197
	v_fma_f32 v183, v183, v198, -v0
	v_add_f32_e32 v0, v201, v203
	v_add_f32_e32 v5, v113, v136
	v_fma_f32 v1, -0.5, v1, v113
	v_add_f32_e32 v7, v137, v188
	v_add_f32_e32 v113, v132, v135
	v_fmac_f32_e32 v127, v2, v116
	v_fma_f32 v184, v2, v117, -v3
	v_add_f32_e32 v2, v112, v201
	v_fma_f32 v0, -0.5, v0, v112
	v_sub_f32_e32 v3, v136, v133
	v_sub_f32_e32 v6, v201, v203
	v_add_f32_e32 v112, v114, v137
	v_fma_f32 v114, -0.5, v7, v114
	v_sub_f32_e32 v7, v132, v135
	v_add_f32_e32 v116, v115, v132
	v_fmac_f32_e32 v115, -0.5, v113
	v_sub_f32_e32 v117, v137, v188
	v_fmamk_f32 v4, v3, 0xbf5db3d7, v0
	v_fmac_f32_e32 v0, 0x3f5db3d7, v3
	v_add_f32_e32 v3, v5, v133
	v_fmamk_f32 v5, v6, 0x3f5db3d7, v1
	v_fmac_f32_e32 v1, 0xbf5db3d7, v6
	v_add_f32_e32 v6, v112, v188
	;; [unrolled: 3-line block ×3, first 2 shown]
	v_add_f32_e32 v116, v139, v138
	v_fmamk_f32 v113, v117, 0x3f5db3d7, v115
	v_fmac_f32_e32 v115, 0xbf5db3d7, v117
	v_add_f32_e32 v117, v129, v124
	v_add_f32_e32 v118, v108, v139
	v_fma_f32 v108, -0.5, v116, v108
	v_sub_f32_e32 v119, v129, v124
	v_add_f32_e32 v120, v109, v129
	v_fma_f32 v109, -0.5, v117, v109
	v_sub_f32_e32 v121, v139, v138
	v_add_f32_e32 v116, v118, v138
	v_fmamk_f32 v118, v119, 0xbf5db3d7, v108
	v_fmac_f32_e32 v108, 0x3f5db3d7, v119
	v_add_f32_e32 v117, v120, v124
	v_add_f32_e32 v120, v134, v125
	v_fmamk_f32 v119, v121, 0x3f5db3d7, v109
	v_add_f32_e32 v122, v110, v134
	v_fmac_f32_e32 v109, 0xbf5db3d7, v121
	v_add_f32_e32 v121, v128, v126
	v_fma_f32 v110, -0.5, v120, v110
	v_sub_f32_e32 v123, v128, v126
	v_add_f32_e32 v120, v122, v125
	v_add_f32_e32 v124, v111, v128
	v_fmac_f32_e32 v111, -0.5, v121
	v_sub_f32_e32 v125, v134, v125
	v_fmamk_f32 v122, v123, 0xbf5db3d7, v110
	v_fmac_f32_e32 v110, 0x3f5db3d7, v123
	v_add_f32_e32 v121, v124, v126
	v_add_f32_e32 v124, v130, v127
	v_fmamk_f32 v123, v125, 0x3f5db3d7, v111
	v_fmac_f32_e32 v111, 0xbf5db3d7, v125
	v_add_f32_e32 v125, v131, v184
	v_add_f32_e32 v126, v104, v130
	v_fma_f32 v104, -0.5, v124, v104
	v_sub_f32_e32 v128, v131, v184
	v_add_f32_e32 v129, v105, v131
	v_fma_f32 v105, -0.5, v125, v105
	v_sub_f32_e32 v130, v130, v127
	v_add_f32_e32 v124, v126, v127
	v_fmamk_f32 v126, v128, 0xbf5db3d7, v104
	v_fmac_f32_e32 v104, 0x3f5db3d7, v128
	v_add_f32_e32 v125, v129, v184
	v_add_f32_e32 v128, v182, v186
	v_fmamk_f32 v127, v130, 0x3f5db3d7, v105
	v_add_f32_e32 v129, v106, v182
	v_fmac_f32_e32 v105, 0xbf5db3d7, v130
	v_add_f32_e32 v130, v187, v185
	v_fma_f32 v106, -0.5, v128, v106
	v_sub_f32_e32 v131, v187, v185
	v_add_f32_e32 v128, v129, v186
	v_add_f32_e32 v129, v107, v187
	v_fmac_f32_e32 v107, -0.5, v130
	v_sub_f32_e32 v132, v182, v186
	v_fmamk_f32 v130, v131, 0xbf5db3d7, v106
	v_fmac_f32_e32 v106, 0x3f5db3d7, v131
	v_add_f32_e32 v133, v189, v190
	v_add_f32_e32 v134, v189, v195
	v_fmamk_f32 v131, v132, 0x3f5db3d7, v107
	v_fmac_f32_e32 v107, 0xbf5db3d7, v132
	v_add_f32_e32 v132, v183, v181
	v_fmac_f32_e32 v195, -0.5, v133
	v_sub_f32_e32 v133, v183, v181
	v_add_f32_e32 v135, v183, v196
	v_sub_f32_e32 v136, v189, v190
	v_fmac_f32_e32 v196, -0.5, v132
	v_add_f32_e32 v132, v134, v190
	v_fmamk_f32 v134, v133, 0xbf5db3d7, v195
	v_fmac_f32_e32 v195, 0x3f5db3d7, v133
	v_add_f32_e32 v133, v181, v135
	v_fmamk_f32 v135, v136, 0x3f5db3d7, v196
	v_fmac_f32_e32 v196, 0xbf5db3d7, v136
	s_barrier
	buffer_gl0_inv
	buffer_load_dword v136, off, s[20:23], 0 offset:84 ; 4-byte Folded Reload
	v_add_f32_e32 v2, v2, v203
	v_add_f32_e32 v129, v129, v185
	s_waitcnt vmcnt(0)
	ds_write2_b64 v136, v[2:3], v[4:5] offset1:4
	ds_write_b64 v136, v[0:1] offset:64
	buffer_load_dword v0, off, s[20:23], 0 offset:80 ; 4-byte Folded Reload
	s_waitcnt vmcnt(0)
	ds_write2_b64 v0, v[6:7], v[112:113] offset1:4
	ds_write_b64 v0, v[114:115] offset:64
	buffer_load_dword v0, off, s[20:23], 0 offset:76 ; 4-byte Folded Reload
	s_waitcnt vmcnt(0)
	ds_write2_b64 v0, v[116:117], v[118:119] offset1:4
	ds_write_b64 v0, v[108:109] offset:64
	buffer_load_dword v0, off, s[20:23], 0 offset:72 ; 4-byte Folded Reload
	s_waitcnt vmcnt(0)
	ds_write2_b64 v0, v[120:121], v[122:123] offset1:4
	ds_write_b64 v0, v[110:111] offset:64
	buffer_load_dword v0, off, s[20:23], 0 offset:68 ; 4-byte Folded Reload
	s_waitcnt vmcnt(0)
	ds_write2_b64 v0, v[124:125], v[126:127] offset1:4
	ds_write_b64 v0, v[104:105] offset:64
	buffer_load_dword v0, off, s[20:23], 0 offset:64 ; 4-byte Folded Reload
	s_waitcnt vmcnt(0)
	ds_write2_b64 v0, v[128:129], v[130:131] offset1:4
	ds_write_b64 v0, v[106:107] offset:64
	s_and_saveexec_b32 s1, vcc_lo
	s_cbranch_execz .LBB0_17
; %bb.16:
	s_clause 0x1
	buffer_load_dword v0, off, s[20:23], 0 offset:104
	buffer_load_dword v1, off, s[20:23], 0 offset:100
	s_waitcnt vmcnt(1)
	v_mul_u32_u24_e32 v0, 12, v0
	s_waitcnt vmcnt(0)
	v_or_b32_e32 v0, v0, v1
	v_lshlrev_b32_e32 v0, 3, v0
	ds_write2_b64 v0, v[132:133], v[134:135] offset1:4
	ds_write_b64 v0, v[195:196] offset:64
.LBB0_17:
	s_or_b32 exec_lo, exec_lo, s1
	v_add_nc_u32_e32 v0, 0x800, v199
	v_add_nc_u32_e32 v1, 0x1800, v199
	;; [unrolled: 1-line block ×3, first 2 shown]
	s_waitcnt lgkmcnt(0)
	s_barrier
	buffer_gl0_inv
	ds_read2_b64 v[4:7], v199 offset1:63
	ds_read2_b64 v[128:131], v0 offset0:164 offset1:227
	ds_read2_b64 v[116:119], v1 offset0:72 offset1:135
	v_add_nc_u32_e32 v0, 0x1c00, v199
	v_add_nc_u32_e32 v1, 0x400, v199
	;; [unrolled: 1-line block ×3, first 2 shown]
	ds_read2_b64 v[104:107], v199 offset0:126 offset1:189
	ds_read2_b64 v[124:127], v108 offset0:34 offset1:97
	;; [unrolled: 1-line block ×6, first 2 shown]
	s_and_saveexec_b32 s1, vcc_lo
	s_cbranch_execz .LBB0_19
; %bb.18:
	ds_read_b64 v[132:133], v199 offset:3024
	ds_read_b64 v[134:135], v199 offset:6384
	;; [unrolled: 1-line block ×3, first 2 shown]
.LBB0_19:
	s_or_b32 exec_lo, exec_lo, s1
	s_waitcnt lgkmcnt(7)
	v_mul_f32_e32 v138, v29, v131
	v_mul_f32_e32 v29, v29, v130
	;; [unrolled: 1-line block ×4, first 2 shown]
	s_waitcnt lgkmcnt(6)
	v_mul_f32_e32 v137, v35, v117
	v_mul_f32_e32 v35, v35, v116
	v_fmac_f32_e32 v138, v28, v130
	v_fma_f32 v28, v28, v131, -v29
	v_mul_f32_e32 v29, v31, v118
	v_fmac_f32_e32 v136, v32, v128
	v_fma_f32 v32, v32, v129, -v33
	v_fmac_f32_e32 v137, v34, v116
	v_fma_f32 v33, v34, v117, -v35
	v_mul_f32_e32 v34, v31, v119
	v_fma_f32 v29, v30, v119, -v29
	s_waitcnt lgkmcnt(3)
	v_mul_f32_e32 v117, v23, v123
	s_waitcnt lgkmcnt(1)
	v_mul_f32_e32 v119, v17, v113
	v_mul_f32_e32 v17, v17, v112
	;; [unrolled: 1-line block ×4, first 2 shown]
	v_fmac_f32_e32 v117, v22, v122
	v_fmac_f32_e32 v119, v16, v112
	v_mul_f32_e32 v122, v13, v115
	v_fma_f32 v112, v16, v113, -v17
	v_mul_f32_e32 v16, v13, v114
	s_waitcnt lgkmcnt(0)
	v_mul_f32_e32 v113, v15, v111
	v_mul_f32_e32 v15, v15, v110
	;; [unrolled: 1-line block ×4, first 2 shown]
	v_fmac_f32_e32 v122, v12, v114
	v_fma_f32 v114, v12, v115, -v16
	v_fmac_f32_e32 v113, v14, v110
	v_fma_f32 v111, v14, v111, -v15
	v_fmac_f32_e32 v13, v8, v134
	v_add_f32_e32 v12, v136, v137
	v_fma_f32 v9, v8, v135, -v9
	v_mul_f32_e32 v8, v11, v196
	v_mul_f32_e32 v14, v11, v195
	;; [unrolled: 1-line block ×3, first 2 shown]
	v_fmac_f32_e32 v34, v30, v118
	v_add_f32_e32 v15, v4, v136
	v_fma_f32 v11, -0.5, v12, v4
	v_sub_f32_e32 v12, v32, v33
	v_fmac_f32_e32 v8, v10, v195
	v_fma_f32 v4, v10, v196, -v14
	v_add_f32_e32 v10, v32, v33
	v_mul_f32_e32 v35, v27, v121
	v_fmac_f32_e32 v31, v24, v124
	v_fma_f32 v25, v24, v125, -v25
	v_mul_f32_e32 v24, v27, v120
	v_add_f32_e32 v14, v15, v137
	v_fmamk_f32 v16, v12, 0xbf5db3d7, v11
	v_add_f32_e32 v15, v5, v32
	v_fmac_f32_e32 v11, 0x3f5db3d7, v12
	v_add_f32_e32 v17, v138, v34
	v_fma_f32 v12, -0.5, v10, v5
	v_sub_f32_e32 v5, v136, v137
	v_fmac_f32_e32 v35, v26, v120
	v_mul_f32_e32 v116, v21, v127
	v_mul_f32_e32 v21, v21, v126
	v_fma_f32 v27, v26, v121, -v24
	v_mul_f32_e32 v121, v19, v109
	v_mul_f32_e32 v19, v19, v108
	v_add_f32_e32 v10, v6, v138
	v_fma_f32 v6, -0.5, v17, v6
	v_fmamk_f32 v17, v5, 0x3f5db3d7, v12
	v_fmac_f32_e32 v12, 0xbf5db3d7, v5
	v_add_f32_e32 v5, v28, v29
	v_fma_f32 v118, v20, v127, -v21
	v_fmac_f32_e32 v121, v18, v108
	v_fma_f32 v109, v18, v109, -v19
	v_sub_f32_e32 v19, v28, v29
	v_add_f32_e32 v18, v10, v34
	v_add_f32_e32 v10, v7, v28
	;; [unrolled: 1-line block ×3, first 2 shown]
	v_fmac_f32_e32 v7, -0.5, v5
	v_sub_f32_e32 v5, v138, v34
	v_fmac_f32_e32 v116, v20, v126
	v_fma_f32 v120, v22, v123, -v23
	v_fmamk_f32 v20, v19, 0xbf5db3d7, v6
	v_fmac_f32_e32 v6, 0x3f5db3d7, v19
	v_add_f32_e32 v19, v10, v29
	v_add_f32_e32 v10, v104, v31
	v_fma_f32 v22, -0.5, v21, v104
	v_sub_f32_e32 v23, v25, v27
	v_fmamk_f32 v21, v5, 0x3f5db3d7, v7
	v_fmac_f32_e32 v7, 0xbf5db3d7, v5
	v_add_f32_e32 v5, v25, v27
	v_add_f32_e32 v24, v10, v35
	v_fmamk_f32 v26, v23, 0xbf5db3d7, v22
	v_add_f32_e32 v10, v105, v25
	v_fmac_f32_e32 v22, 0x3f5db3d7, v23
	v_fma_f32 v23, -0.5, v5, v105
	v_sub_f32_e32 v5, v31, v35
	v_add_f32_e32 v28, v116, v117
	v_add_f32_e32 v25, v10, v27
	;; [unrolled: 1-line block ×3, first 2 shown]
	v_sub_f32_e32 v29, v118, v120
	v_fmamk_f32 v27, v5, 0x3f5db3d7, v23
	v_fmac_f32_e32 v23, 0xbf5db3d7, v5
	v_add_f32_e32 v5, v118, v120
	v_fma_f32 v106, -0.5, v28, v106
	v_add_f32_e32 v28, v10, v117
	v_add_f32_e32 v10, v107, v118
	;; [unrolled: 1-line block ×3, first 2 shown]
	v_fmac_f32_e32 v107, -0.5, v5
	v_sub_f32_e32 v5, v116, v117
	v_fmamk_f32 v30, v29, 0xbf5db3d7, v106
	v_fmac_f32_e32 v106, 0x3f5db3d7, v29
	v_add_f32_e32 v29, v10, v120
	v_add_f32_e32 v10, v0, v119
	v_fma_f32 v32, -0.5, v31, v0
	v_fmamk_f32 v31, v5, 0x3f5db3d7, v107
	v_fmac_f32_e32 v107, 0xbf5db3d7, v5
	v_add_f32_e32 v5, v112, v109
	v_add_f32_e32 v15, v15, v33
	v_sub_f32_e32 v0, v112, v109
	v_add_f32_e32 v34, v10, v121
	v_add_f32_e32 v10, v1, v112
	v_fma_f32 v33, -0.5, v5, v1
	v_sub_f32_e32 v1, v119, v121
	v_fmamk_f32 v108, v0, 0xbf5db3d7, v32
	v_fmac_f32_e32 v32, 0x3f5db3d7, v0
	v_add_f32_e32 v35, v10, v109
	v_fmamk_f32 v109, v1, 0x3f5db3d7, v33
	v_fmac_f32_e32 v33, 0xbf5db3d7, v1
	s_barrier
	buffer_gl0_inv
	ds_write2_b64 v234, v[14:15], v[16:17] offset1:12
	ds_write_b64 v234, v[11:12] offset:192
	ds_write2_b64 v233, v[18:19], v[20:21] offset1:12
	ds_write_b64 v233, v[6:7] offset:192
	ds_write2_b64 v232, v[24:25], v[26:27] offset1:12
	ds_write_b64 v232, v[22:23] offset:192
	ds_write2_b64 v231, v[28:29], v[30:31] offset1:12
	ds_write_b64 v231, v[106:107] offset:192
	ds_write2_b64 v230, v[34:35], v[108:109] offset1:12
	ds_write_b64 v230, v[32:33] offset:192
	buffer_load_dword v6, off, s[20:23], 0 offset:92 ; 4-byte Folded Reload
	v_add_f32_e32 v0, v122, v113
	v_add_f32_e32 v5, v2, v122
	;; [unrolled: 1-line block ×5, first 2 shown]
	v_fma_f32 v2, -0.5, v0, v2
	v_sub_f32_e32 v0, v114, v111
	v_add_f32_e32 v110, v5, v113
	v_fmac_f32_e32 v3, -0.5, v1
	v_sub_f32_e32 v105, v122, v113
	v_sub_f32_e32 v5, v9, v4
	v_fmamk_f32 v112, v0, 0xbf5db3d7, v2
	v_fmac_f32_e32 v2, 0x3f5db3d7, v0
	v_add_f32_e32 v0, v13, v8
	v_fma_f32 v1, -0.5, v10, v133
	v_sub_f32_e32 v10, v13, v8
	v_add_f32_e32 v111, v104, v111
	v_fmamk_f32 v113, v105, 0x3f5db3d7, v3
	v_fma_f32 v0, -0.5, v0, v132
	v_fmac_f32_e32 v3, 0xbf5db3d7, v105
	v_fmamk_f32 v105, v10, 0xbf5db3d7, v1
	s_waitcnt vmcnt(0)
	ds_write2_b64 v6, v[110:111], v[112:113] offset1:12
	ds_write_b64 v6, v[2:3] offset:192
	v_fmamk_f32 v104, v5, 0x3f5db3d7, v0
	s_and_saveexec_b32 s1, vcc_lo
	s_cbranch_execz .LBB0_21
; %bb.20:
	v_add_f32_e32 v2, v9, v133
	v_add_f32_e32 v6, v13, v132
	v_mul_f32_e32 v7, 0x3f5db3d7, v10
	v_mul_f32_e32 v5, 0x3f5db3d7, v5
	v_mov_b32_e32 v9, 3
	v_add_f32_e32 v3, v4, v2
	buffer_load_dword v4, off, s[20:23], 0 offset:88 ; 4-byte Folded Reload
	v_add_f32_e32 v2, v6, v8
	v_add_f32_e32 v1, v7, v1
	v_sub_f32_e32 v0, v0, v5
	s_waitcnt vmcnt(0)
	v_lshlrev_b32_sdwa v4, v9, v4 dst_sel:DWORD dst_unused:UNUSED_PAD src0_sel:DWORD src1_sel:WORD_0
	ds_write2_b64 v4, v[2:3], v[0:1] offset1:12
	ds_write_b64 v4, v[104:105] offset:192
.LBB0_21:
	s_or_b32 exec_lo, exec_lo, s1
	v_add_nc_u32_e32 v0, 0x400, v199
	v_add_nc_u32_e32 v1, 0xc00, v199
	;; [unrolled: 1-line block ×3, first 2 shown]
	s_waitcnt lgkmcnt(0)
	s_barrier
	buffer_gl0_inv
	ds_read2_b64 v[10:13], v0 offset0:124 offset1:187
	v_add_nc_u32_e32 v0, 0x1c00, v199
	ds_read2_b64 v[14:17], v1 offset0:120 offset1:183
	ds_read2_b64 v[29:32], v20 offset0:116 offset1:179
	;; [unrolled: 1-line block ×3, first 2 shown]
	ds_read2_b64 v[6:9], v199 offset1:63
	v_add_nc_u32_e32 v21, 0x800, v199
	v_add_nc_u32_e32 v22, 0x1000, v199
	;; [unrolled: 1-line block ×4, first 2 shown]
	ds_read2_b64 v[0:3], v199 offset0:126 offset1:189
	ds_read2_b64 v[110:113], v21 offset0:122 offset1:185
	;; [unrolled: 1-line block ×5, first 2 shown]
	s_waitcnt lgkmcnt(0)
	s_barrier
	buffer_gl0_inv
	v_mul_f32_e32 v5, v49, v10
	v_mul_f32_e32 v23, v51, v15
	;; [unrolled: 1-line block ×5, first 2 shown]
	v_fma_f32 v5, v48, v11, -v5
	v_fmac_f32_e32 v23, v50, v14
	v_fma_f32 v11, v50, v15, -v18
	v_fma_f32 v14, v44, v30, -v19
	v_mul_f32_e32 v15, v41, v13
	v_mul_f32_e32 v18, v41, v12
	;; [unrolled: 1-line block ×5, first 2 shown]
	v_fmac_f32_e32 v15, v40, v12
	v_fma_f32 v12, v40, v13, -v18
	v_fmac_f32_e32 v41, v42, v16
	v_fma_f32 v13, v42, v17, -v19
	v_mul_f32_e32 v16, v37, v31
	v_mul_f32_e32 v17, v39, v108
	v_fmac_f32_e32 v4, v48, v10
	v_fmac_f32_e32 v26, v44, v29
	v_mul_f32_e32 v18, v65, v110
	v_fma_f32 v44, v36, v32, -v16
	v_fma_f32 v45, v38, v109, -v17
	v_mul_f32_e32 v16, v67, v114
	v_mul_f32_e32 v48, v53, v119
	;; [unrolled: 1-line block ×5, first 2 shown]
	v_fma_f32 v47, v64, v111, -v18
	v_mul_f32_e32 v49, v55, v123
	v_fma_f32 v50, v66, v115, -v16
	v_fmac_f32_e32 v48, v52, v118
	v_fma_f32 v51, v52, v119, -v17
	v_mul_f32_e32 v16, v55, v122
	v_mul_f32_e32 v52, v57, v113
	;; [unrolled: 1-line block ×4, first 2 shown]
	v_fmac_f32_e32 v27, v46, v106
	v_fma_f32 v10, v46, v107, -v10
	v_mul_f32_e32 v43, v37, v32
	v_fmac_f32_e32 v49, v54, v122
	v_fma_f32 v54, v54, v123, -v16
	v_fmac_f32_e32 v52, v56, v112
	v_fma_f32 v55, v56, v113, -v17
	v_fma_f32 v56, v58, v117, -v18
	v_add_f32_e32 v16, v23, v26
	v_mul_f32_e32 v17, v61, v120
	v_add_f32_e32 v18, v6, v4
	v_fmac_f32_e32 v43, v36, v31
	v_mul_f32_e32 v53, v59, v117
	v_mul_f32_e32 v57, v61, v121
	v_fma_f32 v16, -0.5, v16, v6
	v_sub_f32_e32 v19, v5, v10
	v_fma_f32 v59, v60, v121, -v17
	v_add_f32_e32 v17, v18, v23
	v_sub_f32_e32 v25, v4, v23
	v_sub_f32_e32 v29, v27, v26
	v_add_f32_e32 v31, v4, v27
	v_mul_f32_e32 v32, v63, v124
	v_fmac_f32_e32 v57, v60, v120
	v_fmamk_f32 v18, v19, 0xbf737871, v16
	v_sub_f32_e32 v30, v11, v14
	v_add_f32_e32 v17, v17, v26
	v_add_f32_e32 v33, v25, v29
	v_fma_f32 v25, -0.5, v31, v6
	v_fma_f32 v60, v62, v125, -v32
	v_fmac_f32_e32 v16, 0x3f737871, v19
	v_add_f32_e32 v32, v7, v5
	v_fmac_f32_e32 v18, 0xbf167918, v30
	v_add_f32_e32 v29, v17, v27
	v_fmamk_f32 v31, v30, 0x3f737871, v25
	v_sub_f32_e32 v6, v23, v4
	v_sub_f32_e32 v17, v26, v27
	v_fmac_f32_e32 v16, 0x3f167918, v30
	v_add_f32_e32 v34, v11, v14
	v_fmac_f32_e32 v25, 0xbf737871, v30
	v_add_f32_e32 v30, v32, v11
	v_add_f32_e32 v6, v6, v17
	v_sub_f32_e32 v4, v4, v27
	v_fma_f32 v17, -0.5, v34, v7
	v_fmac_f32_e32 v18, 0x3e9e377a, v33
	v_add_f32_e32 v27, v30, v14
	v_add_f32_e32 v30, v5, v10
	v_fmac_f32_e32 v31, 0xbf167918, v19
	v_fmac_f32_e32 v16, 0x3e9e377a, v33
	;; [unrolled: 1-line block ×3, first 2 shown]
	v_fmamk_f32 v19, v4, 0x3f737871, v17
	v_sub_f32_e32 v23, v23, v26
	v_sub_f32_e32 v32, v5, v11
	;; [unrolled: 1-line block ×3, first 2 shown]
	v_fma_f32 v26, -0.5, v30, v7
	v_fmac_f32_e32 v17, 0xbf737871, v4
	v_sub_f32_e32 v5, v11, v5
	v_sub_f32_e32 v7, v14, v10
	v_mul_f32_e32 v40, v39, v109
	v_fmac_f32_e32 v31, 0x3e9e377a, v6
	v_fmac_f32_e32 v25, 0x3e9e377a, v6
	;; [unrolled: 1-line block ×3, first 2 shown]
	v_add_f32_e32 v6, v32, v33
	v_fmac_f32_e32 v17, 0xbf167918, v23
	v_add_f32_e32 v5, v5, v7
	v_add_f32_e32 v7, v8, v15
	v_fmac_f32_e32 v40, v38, v108
	v_add_f32_e32 v30, v27, v10
	v_fmamk_f32 v32, v23, 0xbf737871, v26
	v_fmac_f32_e32 v19, 0x3e9e377a, v6
	v_add_f32_e32 v10, v41, v43
	v_fmac_f32_e32 v17, 0x3e9e377a, v6
	v_fmac_f32_e32 v26, 0x3f737871, v23
	v_add_f32_e32 v6, v7, v41
	v_fmac_f32_e32 v32, 0x3f167918, v4
	v_fma_f32 v33, -0.5, v10, v8
	v_sub_f32_e32 v10, v12, v45
	v_sub_f32_e32 v11, v15, v41
	v_sub_f32_e32 v14, v40, v43
	v_add_f32_e32 v23, v15, v40
	v_fmac_f32_e32 v26, 0xbf167918, v4
	v_add_f32_e32 v4, v6, v43
	v_fmac_f32_e32 v32, 0x3e9e377a, v5
	v_fmamk_f32 v35, v10, 0xbf737871, v33
	v_sub_f32_e32 v7, v13, v44
	v_add_f32_e32 v6, v11, v14
	v_fma_f32 v8, -0.5, v23, v8
	v_fmac_f32_e32 v26, 0x3e9e377a, v5
	v_add_f32_e32 v37, v4, v40
	v_fmac_f32_e32 v33, 0x3f737871, v10
	v_sub_f32_e32 v4, v41, v15
	v_sub_f32_e32 v5, v43, v40
	v_add_f32_e32 v11, v9, v12
	v_add_f32_e32 v14, v13, v44
	v_mul_f32_e32 v42, v65, v111
	v_mul_f32_e32 v46, v67, v115
	v_fmac_f32_e32 v35, 0xbf167918, v7
	v_fmamk_f32 v39, v7, 0x3f737871, v8
	v_fmac_f32_e32 v33, 0x3f167918, v7
	v_add_f32_e32 v4, v4, v5
	v_fmac_f32_e32 v8, 0xbf737871, v7
	v_add_f32_e32 v5, v11, v13
	v_fma_f32 v34, -0.5, v14, v9
	v_sub_f32_e32 v7, v15, v40
	v_fmac_f32_e32 v42, v64, v110
	v_fmac_f32_e32 v46, v66, v114
	;; [unrolled: 1-line block ×6, first 2 shown]
	v_add_f32_e32 v5, v5, v44
	v_fmamk_f32 v36, v7, 0x3f737871, v34
	v_add_f32_e32 v6, v12, v45
	v_sub_f32_e32 v10, v41, v43
	v_sub_f32_e32 v11, v12, v13
	;; [unrolled: 1-line block ×3, first 2 shown]
	v_fmac_f32_e32 v34, 0xbf737871, v7
	v_fmac_f32_e32 v39, 0x3e9e377a, v4
	v_fmac_f32_e32 v8, 0x3e9e377a, v4
	v_fmac_f32_e32 v9, -0.5, v6
	v_add_f32_e32 v38, v5, v45
	v_fmac_f32_e32 v36, 0x3f167918, v10
	v_add_f32_e32 v5, v11, v14
	v_sub_f32_e32 v4, v13, v12
	v_sub_f32_e32 v6, v44, v45
	v_add_f32_e32 v11, v46, v48
	v_fmac_f32_e32 v34, 0xbf167918, v10
	v_add_f32_e32 v12, v0, v42
	v_fmamk_f32 v40, v10, 0xbf737871, v9
	v_fmac_f32_e32 v36, 0x3e9e377a, v5
	v_add_f32_e32 v6, v4, v6
	v_fma_f32 v4, -0.5, v11, v0
	v_sub_f32_e32 v11, v47, v54
	v_fmac_f32_e32 v34, 0x3e9e377a, v5
	v_fmac_f32_e32 v9, 0x3f737871, v10
	v_add_f32_e32 v5, v12, v46
	v_sub_f32_e32 v12, v42, v46
	v_sub_f32_e32 v13, v49, v48
	v_add_f32_e32 v14, v42, v49
	v_fmac_f32_e32 v40, 0x3f167918, v7
	v_fmamk_f32 v41, v11, 0xbf737871, v4
	v_sub_f32_e32 v10, v50, v51
	v_fmac_f32_e32 v9, 0xbf167918, v7
	v_add_f32_e32 v5, v5, v48
	v_add_f32_e32 v7, v12, v13
	v_fma_f32 v0, -0.5, v14, v0
	v_fmac_f32_e32 v4, 0x3f737871, v11
	v_add_f32_e32 v12, v1, v47
	v_fmac_f32_e32 v40, 0x3e9e377a, v6
	v_fmac_f32_e32 v41, 0xbf167918, v10
	;; [unrolled: 1-line block ×3, first 2 shown]
	v_add_f32_e32 v43, v5, v49
	v_fmamk_f32 v45, v10, 0x3f737871, v0
	v_sub_f32_e32 v5, v46, v42
	v_sub_f32_e32 v6, v48, v49
	v_fmac_f32_e32 v4, 0x3f167918, v10
	v_add_f32_e32 v13, v50, v51
	v_fmac_f32_e32 v0, 0xbf737871, v10
	v_add_f32_e32 v10, v12, v50
	v_fmac_f32_e32 v53, v58, v116
	v_fmac_f32_e32 v41, 0x3e9e377a, v7
	;; [unrolled: 1-line block ×3, first 2 shown]
	v_add_f32_e32 v6, v5, v6
	v_fma_f32 v5, -0.5, v13, v1
	v_sub_f32_e32 v12, v42, v49
	v_fmac_f32_e32 v4, 0x3e9e377a, v7
	v_fmac_f32_e32 v0, 0x3f167918, v11
	v_add_f32_e32 v7, v10, v51
	v_add_f32_e32 v10, v47, v54
	v_sub_f32_e32 v13, v47, v50
	v_sub_f32_e32 v14, v54, v51
	v_mul_f32_e32 v58, v63, v125
	v_fmac_f32_e32 v45, 0x3e9e377a, v6
	v_fmamk_f32 v42, v12, 0x3f737871, v5
	v_sub_f32_e32 v11, v46, v48
	v_fmac_f32_e32 v0, 0x3e9e377a, v6
	v_fma_f32 v1, -0.5, v10, v1
	v_add_f32_e32 v44, v7, v54
	v_add_f32_e32 v6, v13, v14
	v_fmac_f32_e32 v5, 0xbf737871, v12
	v_sub_f32_e32 v7, v50, v47
	v_sub_f32_e32 v10, v51, v54
	v_add_f32_e32 v13, v53, v57
	v_fmac_f32_e32 v58, v62, v124
	v_fmac_f32_e32 v42, 0x3f167918, v11
	v_fmamk_f32 v46, v11, 0xbf737871, v1
	v_fmac_f32_e32 v5, 0xbf167918, v11
	v_add_f32_e32 v7, v7, v10
	v_fmac_f32_e32 v1, 0x3f737871, v11
	v_add_f32_e32 v11, v2, v52
	v_fma_f32 v10, -0.5, v13, v2
	v_sub_f32_e32 v13, v55, v60
	v_fmac_f32_e32 v42, 0x3e9e377a, v6
	v_fmac_f32_e32 v46, 0x3f167918, v12
	;; [unrolled: 1-line block ×4, first 2 shown]
	v_add_f32_e32 v6, v11, v53
	v_fmamk_f32 v12, v13, 0xbf737871, v10
	v_sub_f32_e32 v11, v56, v59
	v_sub_f32_e32 v14, v52, v53
	;; [unrolled: 1-line block ×3, first 2 shown]
	v_fmac_f32_e32 v10, 0x3f737871, v13
	v_add_f32_e32 v23, v52, v58
	v_fmac_f32_e32 v12, 0xbf167918, v11
	v_add_f32_e32 v27, v3, v55
	v_add_f32_e32 v14, v14, v15
	v_fmac_f32_e32 v10, 0x3f167918, v11
	v_fma_f32 v2, -0.5, v23, v2
	v_sub_f32_e32 v15, v53, v52
	v_sub_f32_e32 v23, v57, v58
	v_fmac_f32_e32 v46, 0x3e9e377a, v7
	v_fmac_f32_e32 v1, 0x3e9e377a, v7
	;; [unrolled: 1-line block ×4, first 2 shown]
	v_fmamk_f32 v14, v11, 0x3f737871, v2
	v_add_f32_e32 v7, v56, v59
	v_fmac_f32_e32 v2, 0xbf737871, v11
	v_add_f32_e32 v15, v15, v23
	v_add_f32_e32 v23, v27, v56
	v_add_f32_e32 v27, v55, v60
	v_fma_f32 v11, -0.5, v7, v3
	v_sub_f32_e32 v7, v52, v58
	v_fmac_f32_e32 v14, 0xbf167918, v13
	v_fmac_f32_e32 v2, 0x3f167918, v13
	v_sub_f32_e32 v47, v53, v57
	v_fmac_f32_e32 v3, -0.5, v27
	v_fmamk_f32 v13, v7, 0x3f737871, v11
	v_fmac_f32_e32 v14, 0x3e9e377a, v15
	v_fmac_f32_e32 v2, 0x3e9e377a, v15
	v_sub_f32_e32 v27, v55, v56
	v_sub_f32_e32 v48, v60, v59
	v_fmac_f32_e32 v11, 0xbf737871, v7
	v_fmamk_f32 v15, v47, 0xbf737871, v3
	v_sub_f32_e32 v49, v56, v55
	v_sub_f32_e32 v50, v59, v60
	v_fmac_f32_e32 v3, 0x3f737871, v47
	v_add_f32_e32 v6, v6, v57
	v_add_f32_e32 v23, v23, v59
	v_fmac_f32_e32 v13, 0x3f167918, v47
	v_add_f32_e32 v27, v27, v48
	v_fmac_f32_e32 v11, 0xbf167918, v47
	v_fmac_f32_e32 v15, 0x3f167918, v7
	v_add_f32_e32 v47, v49, v50
	v_fmac_f32_e32 v3, 0xbf167918, v7
	v_add_f32_e32 v6, v6, v58
	v_add_f32_e32 v7, v23, v60
	v_fmac_f32_e32 v13, 0x3e9e377a, v27
	v_fmac_f32_e32 v11, 0x3e9e377a, v27
	;; [unrolled: 1-line block ×4, first 2 shown]
	ds_write2_b64 v235, v[29:30], v[18:19] offset1:36
	ds_write2_b64 v235, v[31:32], v[25:26] offset0:72 offset1:108
	ds_write_b64 v235, v[16:17] offset:1152
	ds_write2_b64 v236, v[37:38], v[35:36] offset1:36
	ds_write2_b64 v236, v[39:40], v[8:9] offset0:72 offset1:108
	ds_write_b64 v236, v[33:34] offset:1152
	;; [unrolled: 3-line block ×4, first 2 shown]
	s_waitcnt lgkmcnt(0)
	s_barrier
	buffer_gl0_inv
	ds_read2_b64 v[16:19], v199 offset1:63
	ds_read2_b64 v[40:43], v199 offset0:180 offset1:243
	ds_read2_b64 v[32:35], v21 offset0:104 offset1:167
	;; [unrolled: 1-line block ×6, first 2 shown]
	s_and_saveexec_b32 s1, s0
	s_cbranch_execz .LBB0_23
; %bb.22:
	v_add_nc_u32_e32 v0, 0x1a00, v199
	v_add_nc_u32_e32 v1, 0x200, v199
	ds_read2_b64 v[8:11], v0 offset0:14 offset1:194
	v_add_nc_u32_e32 v0, 0xe00, v199
	ds_read_b64 v[104:105], v199 offset:9648
	ds_read2_b64 v[4:7], v1 offset0:62 offset1:242
	ds_read2_b64 v[12:15], v0 offset0:38 offset1:218
	s_waitcnt lgkmcnt(3)
	v_mov_b32_e32 v2, v8
	v_mov_b32_e32 v3, v9
.LBB0_23:
	s_or_b32 exec_lo, exec_lo, s1
	s_waitcnt lgkmcnt(5)
	v_mul_f32_e32 v0, v81, v41
	v_mul_f32_e32 v1, v81, v40
	s_waitcnt lgkmcnt(4)
	v_mul_f32_e32 v8, v83, v33
	v_mul_f32_e32 v9, v83, v32
	s_waitcnt lgkmcnt(1)
	v_mul_f32_e32 v44, v101, v25
	v_fmac_f32_e32 v0, v80, v40
	v_fma_f32 v1, v80, v41, -v1
	v_mul_f32_e32 v40, v99, v21
	v_mul_f32_e32 v41, v99, v20
	v_fmac_f32_e32 v8, v82, v32
	v_fma_f32 v9, v82, v33, -v9
	v_mul_f32_e32 v32, v97, v37
	v_mul_f32_e32 v33, v97, v36
	v_fmac_f32_e32 v40, v98, v20
	v_fma_f32 v20, v98, v21, -v41
	v_fmac_f32_e32 v44, v100, v24
	v_mul_f32_e32 v21, v101, v24
	s_waitcnt lgkmcnt(0)
	v_mul_f32_e32 v24, v103, v29
	v_mul_f32_e32 v41, v85, v42
	v_fmac_f32_e32 v32, v96, v36
	v_fma_f32 v33, v96, v37, -v33
	v_mul_f32_e32 v36, v103, v28
	v_mul_f32_e32 v37, v85, v43
	v_fmac_f32_e32 v24, v102, v28
	v_fma_f32 v28, v84, v43, -v41
	v_mul_f32_e32 v43, v95, v23
	v_fma_f32 v21, v100, v25, -v21
	v_fma_f32 v25, v102, v29, -v36
	v_fmac_f32_e32 v37, v84, v42
	v_mul_f32_e32 v29, v87, v35
	v_mul_f32_e32 v36, v87, v34
	;; [unrolled: 1-line block ×4, first 2 shown]
	v_fmac_f32_e32 v43, v94, v22
	v_mul_f32_e32 v22, v95, v22
	v_fmac_f32_e32 v29, v86, v34
	v_fma_f32 v34, v86, v35, -v36
	v_fmac_f32_e32 v41, v92, v38
	v_fma_f32 v35, v92, v39, -v42
	v_mul_f32_e32 v36, v89, v27
	v_mul_f32_e32 v38, v89, v26
	;; [unrolled: 1-line block ×4, first 2 shown]
	v_fma_f32 v45, v94, v23, -v22
	v_add_f32_e32 v22, v0, v24
	v_add_f32_e32 v23, v1, v25
	v_sub_f32_e32 v0, v0, v24
	v_sub_f32_e32 v1, v1, v25
	v_add_f32_e32 v24, v8, v44
	v_add_f32_e32 v25, v9, v21
	v_fmac_f32_e32 v36, v88, v26
	v_fma_f32 v38, v88, v27, -v38
	v_fmac_f32_e32 v39, v90, v30
	v_fma_f32 v30, v90, v31, -v42
	v_sub_f32_e32 v8, v8, v44
	v_sub_f32_e32 v9, v9, v21
	v_add_f32_e32 v21, v32, v40
	v_add_f32_e32 v26, v33, v20
	v_sub_f32_e32 v27, v40, v32
	v_sub_f32_e32 v20, v20, v33
	v_add_f32_e32 v31, v24, v22
	v_add_f32_e32 v32, v25, v23
	v_sub_f32_e32 v33, v24, v22
	v_sub_f32_e32 v40, v25, v23
	;; [unrolled: 1-line block ×6, first 2 shown]
	v_add_f32_e32 v42, v27, v8
	v_add_f32_e32 v44, v20, v9
	v_sub_f32_e32 v46, v27, v8
	v_sub_f32_e32 v8, v8, v0
	v_add_f32_e32 v21, v21, v31
	v_add_f32_e32 v26, v26, v32
	v_sub_f32_e32 v47, v20, v9
	v_sub_f32_e32 v27, v0, v27
	;; [unrolled: 1-line block ×4, first 2 shown]
	v_add_f32_e32 v31, v42, v0
	v_add_f32_e32 v32, v44, v1
	v_add_f32_e32 v0, v16, v21
	v_add_f32_e32 v1, v17, v26
	v_mul_f32_e32 v16, 0x3f4a47b2, v22
	v_mul_f32_e32 v17, 0x3f4a47b2, v23
	;; [unrolled: 1-line block ×8, first 2 shown]
	v_fmamk_f32 v26, v26, 0xbf955555, v1
	v_fmamk_f32 v24, v24, 0x3d64c772, v16
	;; [unrolled: 1-line block ×3, first 2 shown]
	v_fma_f32 v22, 0x3f3bfb3b, v33, -v22
	v_fma_f32 v16, 0xbf3bfb3b, v33, -v16
	;; [unrolled: 1-line block ×3, first 2 shown]
	v_fmamk_f32 v33, v27, 0xbeae86e6, v42
	v_fma_f32 v27, 0x3eae86e6, v27, -v46
	v_fmamk_f32 v21, v21, 0xbf955555, v0
	v_fma_f32 v23, 0x3f3bfb3b, v40, -v23
	;; [unrolled: 2-line block ×3, first 2 shown]
	v_fma_f32 v44, 0xbf5ff5aa, v9, -v44
	v_fma_f32 v46, 0x3eae86e6, v20, -v47
	v_add_f32_e32 v48, v25, v26
	v_add_f32_e32 v25, v17, v26
	v_fmac_f32_e32 v33, 0xbee1c552, v31
	v_fmac_f32_e32 v27, 0xbee1c552, v31
	v_add_f32_e32 v47, v24, v21
	v_fmac_f32_e32 v40, 0xbee1c552, v32
	v_fmac_f32_e32 v42, 0xbee1c552, v31
	;; [unrolled: 1-line block ×4, first 2 shown]
	v_sub_f32_e32 v9, v48, v33
	v_sub_f32_e32 v17, v25, v27
	v_add_f32_e32 v25, v27, v25
	v_add_f32_e32 v27, v33, v48
	;; [unrolled: 1-line block ×4, first 2 shown]
	v_sub_f32_e32 v33, v37, v39
	v_sub_f32_e32 v28, v28, v30
	v_add_f32_e32 v30, v29, v36
	v_add_f32_e32 v37, v34, v38
	v_add_f32_e32 v22, v22, v21
	v_add_f32_e32 v23, v23, v26
	v_add_f32_e32 v24, v16, v21
	v_add_f32_e32 v8, v40, v47
	v_sub_f32_e32 v26, v47, v40
	v_sub_f32_e32 v29, v29, v36
	;; [unrolled: 1-line block ×3, first 2 shown]
	v_add_f32_e32 v36, v41, v43
	v_add_f32_e32 v38, v35, v45
	v_sub_f32_e32 v39, v43, v41
	v_sub_f32_e32 v35, v45, v35
	v_add_f32_e32 v40, v30, v31
	v_add_f32_e32 v41, v37, v32
	;; [unrolled: 1-line block ×3, first 2 shown]
	v_sub_f32_e32 v20, v22, v44
	v_add_f32_e32 v21, v42, v23
	v_add_f32_e32 v22, v44, v22
	v_sub_f32_e32 v23, v23, v42
	v_sub_f32_e32 v24, v24, v46
	;; [unrolled: 1-line block ×8, first 2 shown]
	v_add_f32_e32 v44, v39, v29
	v_add_f32_e32 v45, v35, v34
	v_sub_f32_e32 v46, v39, v29
	v_sub_f32_e32 v47, v35, v34
	;; [unrolled: 1-line block ×3, first 2 shown]
	v_add_f32_e32 v36, v36, v40
	v_add_f32_e32 v38, v38, v41
	v_sub_f32_e32 v34, v34, v28
	v_sub_f32_e32 v39, v33, v39
	;; [unrolled: 1-line block ×3, first 2 shown]
	v_add_f32_e32 v33, v44, v33
	v_add_f32_e32 v28, v45, v28
	v_add_f32_e32 v18, v18, v36
	v_add_f32_e32 v19, v19, v38
	v_mul_f32_e32 v31, 0x3f4a47b2, v31
	v_mul_f32_e32 v32, 0x3f4a47b2, v32
	v_mul_f32_e32 v40, 0x3d64c772, v30
	v_mul_f32_e32 v41, 0x3d64c772, v37
	v_mul_f32_e32 v44, 0x3f08b237, v46
	v_mul_f32_e32 v45, 0x3f08b237, v47
	v_mul_f32_e32 v46, 0xbf5ff5aa, v29
	v_mul_f32_e32 v47, 0xbf5ff5aa, v34
	v_fmamk_f32 v36, v36, 0xbf955555, v18
	v_fmamk_f32 v38, v38, 0xbf955555, v19
	v_fmamk_f32 v30, v30, 0x3d64c772, v31
	v_fmamk_f32 v37, v37, 0x3d64c772, v32
	v_fma_f32 v40, 0x3f3bfb3b, v42, -v40
	v_fma_f32 v41, 0x3f3bfb3b, v43, -v41
	;; [unrolled: 1-line block ×4, first 2 shown]
	v_fmamk_f32 v42, v39, 0xbeae86e6, v44
	v_fmamk_f32 v43, v35, 0xbeae86e6, v45
	v_fma_f32 v44, 0xbf5ff5aa, v29, -v44
	v_fma_f32 v34, 0xbf5ff5aa, v34, -v45
	;; [unrolled: 1-line block ×4, first 2 shown]
	v_add_f32_e32 v46, v30, v36
	v_add_f32_e32 v47, v37, v38
	v_add_f32_e32 v35, v40, v36
	v_add_f32_e32 v37, v41, v38
	v_add_f32_e32 v36, v31, v36
	v_add_f32_e32 v38, v32, v38
	v_fmac_f32_e32 v42, 0xbee1c552, v33
	v_fmac_f32_e32 v43, 0xbee1c552, v28
	v_fmac_f32_e32 v44, 0xbee1c552, v33
	v_fmac_f32_e32 v45, 0xbee1c552, v28
	v_fmac_f32_e32 v39, 0xbee1c552, v33
	v_fmac_f32_e32 v34, 0xbee1c552, v28
	v_add_f32_e32 v28, v43, v46
	v_sub_f32_e32 v29, v47, v42
	v_add_f32_e32 v30, v45, v36
	v_sub_f32_e32 v31, v38, v39
	v_sub_f32_e32 v32, v35, v34
	v_add_f32_e32 v33, v44, v37
	v_add_f32_e32 v34, v34, v35
	v_sub_f32_e32 v35, v37, v44
	v_sub_f32_e32 v36, v36, v45
	v_add_f32_e32 v37, v39, v38
	v_sub_f32_e32 v38, v46, v43
	v_add_f32_e32 v39, v42, v47
	ds_write_b64 v199, v[8:9] offset:1440
	ds_write_b64 v199, v[16:17] offset:2880
	;; [unrolled: 1-line block ×6, first 2 shown]
	ds_write2_b64 v199, v[0:1], v[18:19] offset1:63
	ds_write_b64 v199, v[28:29] offset:1944
	ds_write_b64 v199, v[30:31] offset:3384
	;; [unrolled: 1-line block ×6, first 2 shown]
	s_and_saveexec_b32 s1, s0
	s_cbranch_execz .LBB0_25
; %bb.24:
	v_mul_f32_e32 v0, v69, v7
	v_mul_f32_e32 v9, v71, v13
	;; [unrolled: 1-line block ×6, first 2 shown]
	v_fmac_f32_e32 v9, v70, v12
	v_fmac_f32_e32 v16, v76, v10
	;; [unrolled: 1-line block ×3, first 2 shown]
	v_mul_f32_e32 v20, v79, v104
	v_mul_f32_e32 v6, v69, v6
	;; [unrolled: 1-line block ×4, first 2 shown]
	v_fmac_f32_e32 v1, v74, v2
	v_fmac_f32_e32 v8, v72, v14
	;; [unrolled: 1-line block ×3, first 2 shown]
	v_fma_f32 v20, v78, v105, -v20
	v_fma_f32 v6, v68, v7, -v6
	v_mul_f32_e32 v7, v73, v14
	v_mul_f32_e32 v2, v75, v2
	v_fma_f32 v10, v76, v11, -v10
	v_fma_f32 v11, v70, v13, -v12
	v_sub_f32_e32 v18, v1, v8
	v_sub_f32_e32 v19, v9, v16
	;; [unrolled: 1-line block ×3, first 2 shown]
	v_add_f32_e32 v13, v20, v6
	v_fma_f32 v7, v72, v15, -v7
	v_fma_f32 v2, v74, v3, -v2
	v_add_f32_e32 v14, v10, v11
	v_sub_f32_e32 v22, v18, v19
	v_sub_f32_e32 v23, v21, v18
	v_add_f32_e32 v12, v18, v19
	v_add_f32_e32 v3, v7, v2
	;; [unrolled: 1-line block ×5, first 2 shown]
	v_sub_f32_e32 v2, v2, v7
	v_sub_f32_e32 v24, v13, v3
	v_add_f32_e32 v18, v3, v18
	v_sub_f32_e32 v0, v3, v14
	v_add_f32_e32 v3, v8, v1
	v_sub_f32_e32 v7, v11, v10
	v_mul_f32_e32 v16, 0x3f4a47b2, v24
	v_add_f32_e32 v1, v5, v18
	v_add_f32_e32 v5, v9, v17
	v_mul_f32_e32 v8, 0x3d64c772, v0
	v_sub_f32_e32 v11, v3, v9
	v_fmamk_f32 v24, v0, 0x3d64c772, v16
	v_sub_f32_e32 v0, v17, v3
	v_add_f32_e32 v5, v3, v5
	v_sub_f32_e32 v19, v19, v21
	v_add_f32_e32 v12, v12, v21
	v_fmamk_f32 v18, v18, 0xbf955555, v1
	v_mul_f32_e32 v10, 0x3f4a47b2, v0
	v_add_f32_e32 v0, v4, v5
	v_sub_f32_e32 v4, v6, v20
	v_sub_f32_e32 v3, v2, v7
	;; [unrolled: 1-line block ×3, first 2 shown]
	v_fmamk_f32 v6, v11, 0x3d64c772, v10
	v_fmamk_f32 v5, v5, 0xbf955555, v0
	v_sub_f32_e32 v9, v9, v17
	v_sub_f32_e32 v14, v7, v4
	v_mul_f32_e32 v22, 0x3f08b237, v22
	v_add_f32_e32 v20, v24, v18
	v_add_f32_e32 v21, v6, v5
	v_mul_f32_e32 v6, 0xbf5ff5aa, v19
	v_sub_f32_e32 v24, v4, v2
	v_mul_f32_e32 v25, 0x3f08b237, v3
	v_mul_f32_e32 v11, 0x3d64c772, v11
	v_add_f32_e32 v2, v2, v7
	v_fma_f32 v17, 0x3eae86e6, v23, -v6
	v_fma_f32 v6, 0xbf3bfb3b, v13, -v16
	;; [unrolled: 1-line block ×3, first 2 shown]
	v_mul_f32_e32 v10, 0xbf5ff5aa, v14
	v_fmamk_f32 v15, v23, 0xbeae86e6, v22
	v_fmamk_f32 v26, v24, 0xbeae86e6, v25
	v_add_f32_e32 v2, v2, v4
	v_add_f32_e32 v16, v6, v18
	v_fma_f32 v4, 0x3f3bfb3b, v13, -v8
	v_fma_f32 v8, 0xbf5ff5aa, v19, -v22
	;; [unrolled: 1-line block ×5, first 2 shown]
	v_fmac_f32_e32 v15, 0xbee1c552, v12
	v_add_f32_e32 v9, v4, v18
	v_fmac_f32_e32 v8, 0xbee1c552, v12
	v_fmac_f32_e32 v13, 0xbee1c552, v2
	v_add_f32_e32 v11, v6, v5
	v_fmac_f32_e32 v26, 0xbee1c552, v2
	;; [unrolled: 3-line block ×3, first 2 shown]
	v_sub_f32_e32 v7, v9, v8
	v_add_f32_e32 v6, v13, v11
	v_add_f32_e32 v9, v8, v9
	v_sub_f32_e32 v8, v11, v13
	v_sub_f32_e32 v13, v20, v15
	v_add_f32_e32 v12, v26, v21
	v_add_nc_u32_e32 v14, 0x200, v199
	v_add_f32_e32 v3, v15, v20
	v_sub_f32_e32 v4, v23, v10
	v_sub_f32_e32 v11, v16, v17
	v_add_f32_e32 v10, v10, v23
	v_add_nc_u32_e32 v15, 0xe00, v199
	v_add_f32_e32 v5, v17, v16
	v_add_nc_u32_e32 v16, 0x1a00, v199
	v_sub_f32_e32 v2, v21, v26
	ds_write2_b64 v14, v[0:1], v[12:13] offset0:62 offset1:242
	ds_write2_b64 v15, v[10:11], v[8:9] offset0:38 offset1:218
	;; [unrolled: 1-line block ×3, first 2 shown]
	ds_write_b64 v199, v[2:3] offset:9648
.LBB0_25:
	s_or_b32 exec_lo, exec_lo, s1
	s_waitcnt lgkmcnt(0)
	s_barrier
	buffer_gl0_inv
	ds_read2_b64 v[0:3], v199 offset1:63
	v_add_nc_u32_e32 v4, 0x1000, v199
	v_mad_u64_u32 v[16:17], null, s10, v146, 0
	v_mad_u64_u32 v[18:19], null, s8, v200, 0
	ds_read2_b64 v[4:7], v4 offset0:118 offset1:181
	s_mov_b32 s0, 0x1a01a01a
	ds_read2_b64 v[8:11], v199 offset0:126 offset1:189
	s_mov_b32 s1, 0x3f4a01a0
	v_add_nc_u32_e32 v14, 0x1400, v199
	v_add_nc_u32_e32 v33, 0x400, v199
	v_mad_u64_u32 v[22:23], null, s11, v146, v[17:18]
	s_mul_i32 s4, s8, 0x13b0
	s_mul_i32 s6, s9, 0x13b0
	s_mul_hi_u32 s7, s8, 0x13b0
	s_mul_hi_u32 s12, s8, 0xffffee48
	s_add_i32 s6, s7, s6
	s_mul_i32 s10, s9, 0xffffee48
	s_waitcnt lgkmcnt(2)
	v_mul_f32_e32 v12, v166, v1
	v_mul_f32_e32 v13, v166, v0
	;; [unrolled: 1-line block ×4, first 2 shown]
	v_mov_b32_e32 v17, v22
	v_fmac_f32_e32 v12, v165, v0
	v_fma_f32 v13, v165, v1, -v13
	s_waitcnt lgkmcnt(1)
	v_mul_f32_e32 v27, v180, v5
	v_mul_f32_e32 v26, v180, v4
	v_fmac_f32_e32 v24, v161, v2
	v_cvt_f64_f32_e32 v[0:1], v12
	v_cvt_f64_f32_e32 v[20:21], v13
	v_fma_f32 v2, v161, v3, -v25
	v_fmac_f32_e32 v27, v179, v4
	v_fma_f32 v3, v179, v5, -v26
	v_cvt_f64_f32_e32 v[23:24], v24
	v_mul_f32_e32 v22, v178, v7
	v_cvt_f64_f32_e32 v[25:26], v2
	v_cvt_f64_f32_e32 v[27:28], v27
	;; [unrolled: 1-line block ×3, first 2 shown]
	ds_read2_b64 v[12:15], v14 offset0:116 offset1:179
	v_fmac_f32_e32 v22, v177, v6
	v_mul_f32_e32 v34, v178, v6
	s_mul_i32 s5, s8, 0xffffee48
	s_sub_i32 s7, s12, s8
	s_add_i32 s7, s7, s10
	v_fma_f32 v34, v177, v7, -v34
	v_mul_f64 v[31:32], v[0:1], s[0:1]
	v_mad_u64_u32 v[4:5], null, s9, v200, v[19:20]
	v_mul_f64 v[20:21], v[20:21], s[0:1]
	s_waitcnt lgkmcnt(1)
	v_mul_f32_e32 v5, v164, v8
	ds_read2_b64 v[0:3], v33 offset0:124 offset1:187
	v_mul_f32_e32 v33, v164, v9
	v_mov_b32_e32 v19, v4
	v_fma_f32 v35, v163, v9, -v5
	v_lshlrev_b64 v[4:5], 3, v[16:17]
	v_cvt_f64_f32_e32 v[16:17], v22
	v_mul_f64 v[22:23], v[23:24], s[0:1]
	v_mul_f64 v[24:25], v[25:26], s[0:1]
	;; [unrolled: 1-line block ×4, first 2 shown]
	v_lshlrev_b64 v[6:7], 3, v[18:19]
	v_cvt_f64_f32_e32 v[18:19], v34
	v_add_co_u32 v4, vcc_lo, s2, v4
	v_fmac_f32_e32 v33, v163, v8
	v_cvt_f32_f64_e32 v30, v[31:32]
	v_add_co_ci_u32_e32 v5, vcc_lo, s3, v5, vcc_lo
	v_cvt_f32_f64_e32 v31, v[20:21]
	v_cvt_f64_f32_e32 v[20:21], v35
	v_add_co_u32 v4, vcc_lo, v4, v6
	v_cvt_f64_f32_e32 v[8:9], v33
	v_add_co_ci_u32_e32 v5, vcc_lo, v5, v7, vcc_lo
	s_waitcnt lgkmcnt(1)
	v_mul_f32_e32 v6, v176, v12
	v_add_co_u32 v32, vcc_lo, v4, s4
	v_add_co_ci_u32_e32 v33, vcc_lo, s6, v5, vcc_lo
	v_cvt_f32_f64_e32 v22, v[22:23]
	v_cvt_f32_f64_e32 v23, v[24:25]
	;; [unrolled: 1-line block ×3, first 2 shown]
	v_mul_f32_e32 v34, v176, v13
	v_mul_f64 v[16:17], v[16:17], s[0:1]
	v_mul_f64 v[18:19], v[18:19], s[0:1]
	v_cvt_f32_f64_e32 v25, v[28:29]
	v_mul_f32_e32 v28, v156, v11
	v_mul_f32_e32 v29, v174, v15
	v_fmac_f32_e32 v34, v175, v12
	global_store_dwordx2 v[4:5], v[30:31], off
	v_fma_f32 v4, v175, v13, -v6
	v_mul_f32_e32 v5, v174, v14
	v_add_nc_u32_e32 v6, 0x1800, v199
	v_mul_f64 v[12:13], v[20:21], s[0:1]
	v_fmac_f32_e32 v28, v155, v10
	v_cvt_f64_f32_e32 v[26:27], v4
	v_mul_f32_e32 v4, v156, v10
	v_fma_f32 v31, v173, v15, -v5
	v_fmac_f32_e32 v29, v173, v14
	v_mul_f64 v[8:9], v[8:9], s[0:1]
	v_cvt_f64_f32_e32 v[20:21], v34
	v_fma_f32 v30, v155, v11, -v4
	ds_read2_b64 v[4:7], v6 offset0:114 offset1:177
	s_waitcnt lgkmcnt(1)
	v_mul_f32_e32 v34, v160, v1
	v_cvt_f64_f32_e32 v[10:11], v28
	v_cvt_f64_f32_e32 v[28:29], v29
	;; [unrolled: 1-line block ×4, first 2 shown]
	v_fmac_f32_e32 v34, v159, v0
	v_mul_f32_e32 v0, v160, v0
	v_cvt_f32_f64_e32 v16, v[16:17]
	v_cvt_f32_f64_e32 v17, v[18:19]
	v_add_co_u32 v36, vcc_lo, v32, s5
	v_cvt_f64_f32_e32 v[34:35], v34
	v_fma_f32 v18, v159, v1, -v0
	v_cvt_f32_f64_e32 v1, v[12:13]
	v_mul_f64 v[12:13], v[26:27], s[0:1]
	v_add_co_ci_u32_e32 v37, vcc_lo, s7, v33, vcc_lo
	v_cvt_f64_f32_e32 v[18:19], v18
	v_cvt_f32_f64_e32 v0, v[8:9]
	s_waitcnt lgkmcnt(0)
	v_mul_f32_e32 v38, v172, v5
	v_mul_f32_e32 v26, v172, v4
	v_mul_f64 v[8:9], v[20:21], s[0:1]
	v_add_co_u32 v20, vcc_lo, v36, s4
	v_fmac_f32_e32 v38, v171, v4
	v_mul_f64 v[10:11], v[10:11], s[0:1]
	v_mul_f64 v[14:15], v[14:15], s[0:1]
	v_fma_f32 v39, v171, v5, -v26
	v_mul_f64 v[4:5], v[28:29], s[0:1]
	v_mul_f64 v[26:27], v[30:31], s[0:1]
	v_cvt_f64_f32_e32 v[30:31], v38
	v_add_co_ci_u32_e32 v21, vcc_lo, s6, v37, vcc_lo
	v_mul_f64 v[28:29], v[34:35], s[0:1]
	v_cvt_f64_f32_e32 v[34:35], v39
	v_add_co_u32 v38, vcc_lo, v20, s5
	v_add_co_ci_u32_e32 v39, vcc_lo, s7, v21, vcc_lo
	v_mul_f64 v[18:19], v[18:19], s[0:1]
	global_store_dwordx2 v[32:33], v[24:25], off
	global_store_dwordx2 v[36:37], v[22:23], off
	;; [unrolled: 1-line block ×4, first 2 shown]
	v_mul_f32_e32 v0, v170, v3
	v_mul_f32_e32 v1, v170, v2
	v_cvt_f32_f64_e32 v8, v[8:9]
	v_cvt_f32_f64_e32 v9, v[12:13]
	v_add_co_u32 v12, vcc_lo, v38, s4
	v_cvt_f32_f64_e32 v10, v[10:11]
	v_cvt_f32_f64_e32 v11, v[14:15]
	;; [unrolled: 1-line block ×3, first 2 shown]
	v_fmac_f32_e32 v0, v169, v2
	v_mul_f64 v[4:5], v[30:31], s[0:1]
	v_fma_f32 v1, v169, v3, -v1
	v_mul_f32_e32 v2, v168, v7
	v_mul_f32_e32 v3, v168, v6
	v_mul_f64 v[20:21], v[34:35], s[0:1]
	v_cvt_f32_f64_e32 v15, v[26:27]
	v_cvt_f64_f32_e32 v[22:23], v1
	v_fmac_f32_e32 v2, v167, v6
	v_fma_f32 v6, v167, v7, -v3
	v_cvt_f32_f64_e32 v16, v[28:29]
	v_cvt_f32_f64_e32 v17, v[18:19]
	v_cvt_f64_f32_e32 v[18:19], v0
	v_cvt_f64_f32_e32 v[26:27], v2
	v_add_nc_u32_e32 v0, 0x800, v199
	v_cvt_f64_f32_e32 v[28:29], v6
	v_add_nc_u32_e32 v6, 0x1c00, v199
	v_add_co_ci_u32_e32 v13, vcc_lo, s6, v39, vcc_lo
	v_add_co_u32 v24, vcc_lo, v12, s5
	ds_read2_b64 v[0:3], v0 offset0:122 offset1:185
	v_add_co_ci_u32_e32 v25, vcc_lo, s7, v13, vcc_lo
	v_cvt_f32_f64_e32 v32, v[4:5]
	ds_read2_b64 v[4:7], v6 offset0:112 offset1:175
	v_add_co_u32 v30, vcc_lo, v24, s4
	v_add_co_ci_u32_e32 v31, vcc_lo, s6, v25, vcc_lo
	v_mul_f64 v[22:23], v[22:23], s[0:1]
	v_cvt_f32_f64_e32 v33, v[20:21]
	v_add_co_u32 v20, vcc_lo, v30, s5
	v_add_co_ci_u32_e32 v21, vcc_lo, s7, v31, vcc_lo
	global_store_dwordx2 v[12:13], v[8:9], off
	global_store_dwordx2 v[24:25], v[10:11], off
	;; [unrolled: 1-line block ×4, first 2 shown]
	v_mul_f64 v[12:13], v[26:27], s[0:1]
	v_mul_f64 v[18:19], v[18:19], s[0:1]
	v_add_co_u32 v8, vcc_lo, v20, s4
	s_waitcnt lgkmcnt(1)
	v_mul_f32_e32 v10, v158, v1
	v_add_co_ci_u32_e32 v9, vcc_lo, s6, v21, vcc_lo
	v_add_co_u32 v24, vcc_lo, v8, s5
	s_waitcnt lgkmcnt(0)
	v_mul_f32_e32 v14, v154, v4
	v_fmac_f32_e32 v10, v157, v0
	v_mul_f32_e32 v0, v158, v0
	v_mul_f32_e32 v11, v154, v5
	v_add_co_ci_u32_e32 v25, vcc_lo, s7, v9, vcc_lo
	v_fma_f32 v14, v153, v5, -v14
	v_cvt_f64_f32_e32 v[20:21], v10
	v_fma_f32 v10, v157, v1, -v0
	v_cvt_f32_f64_e32 v1, v[22:23]
	v_fmac_f32_e32 v11, v153, v4
	v_cvt_f64_f32_e32 v[22:23], v14
	v_add_nc_u32_e32 v14, 0x2000, v199
	v_cvt_f64_f32_e32 v[4:5], v10
	v_add_nc_u32_e32 v10, 0xc00, v199
	v_cvt_f32_f64_e32 v26, v[12:13]
	global_store_dwordx2 v[8:9], v[32:33], off
	ds_read2_b64 v[12:15], v14 offset0:110 offset1:173
	v_cvt_f32_f64_e32 v0, v[18:19]
	v_cvt_f64_f32_e32 v[18:19], v11
	ds_read2_b64 v[8:11], v10 offset0:120 offset1:183
	v_mul_f64 v[16:17], v[28:29], s[0:1]
	v_mul_f32_e32 v28, v143, v3
	v_mul_f32_e32 v29, v143, v2
	;; [unrolled: 1-line block ×4, first 2 shown]
	v_fmac_f32_e32 v28, v142, v2
	v_fma_f32 v29, v142, v3, -v29
	v_mul_f64 v[20:21], v[20:21], s[0:1]
	v_fmac_f32_e32 v30, v147, v6
	v_fma_f32 v31, v147, v7, -v31
	v_mul_f64 v[2:3], v[4:5], s[0:1]
	v_cvt_f64_f32_e32 v[6:7], v30
	s_waitcnt lgkmcnt(1)
	v_mul_f32_e32 v34, v141, v13
	v_mul_f32_e32 v38, v152, v15
	;; [unrolled: 1-line block ×3, first 2 shown]
	s_waitcnt lgkmcnt(0)
	v_mul_f32_e32 v32, v145, v9
	v_mul_f32_e32 v33, v145, v8
	v_fmac_f32_e32 v34, v140, v12
	v_mul_f32_e32 v12, v141, v12
	v_mul_f32_e32 v36, v150, v11
	;; [unrolled: 1-line block ×3, first 2 shown]
	v_mul_f64 v[4:5], v[18:19], s[0:1]
	v_mul_f64 v[18:19], v[22:23], s[0:1]
	v_cvt_f64_f32_e32 v[22:23], v28
	v_cvt_f64_f32_e32 v[28:29], v29
	v_cvt_f32_f64_e32 v27, v[16:17]
	v_fmac_f32_e32 v32, v144, v8
	v_fma_f32 v33, v144, v9, -v33
	v_fma_f32 v12, v140, v13, -v12
	v_fmac_f32_e32 v36, v149, v10
	v_fma_f32 v37, v149, v11, -v37
	v_cvt_f64_f32_e32 v[8:9], v31
	v_fmac_f32_e32 v38, v151, v14
	v_fma_f32 v39, v151, v15, -v39
	v_cvt_f64_f32_e32 v[30:31], v32
	v_cvt_f64_f32_e32 v[32:33], v33
	;; [unrolled: 1-line block ×8, first 2 shown]
	v_add_co_u32 v16, vcc_lo, v24, s4
	v_add_co_ci_u32_e32 v17, vcc_lo, s6, v25, vcc_lo
	global_store_dwordx2 v[24:25], v[0:1], off
	global_store_dwordx2 v[16:17], v[26:27], off
	v_cvt_f32_f64_e32 v0, v[20:21]
	v_cvt_f32_f64_e32 v1, v[2:3]
	v_mul_f64 v[2:3], v[22:23], s[0:1]
	v_mul_f64 v[20:21], v[28:29], s[0:1]
	;; [unrolled: 1-line block ×4, first 2 shown]
	v_cvt_f32_f64_e32 v4, v[4:5]
	v_cvt_f32_f64_e32 v5, v[18:19]
	v_mul_f64 v[18:19], v[30:31], s[0:1]
	v_mul_f64 v[22:23], v[32:33], s[0:1]
	;; [unrolled: 1-line block ×8, first 2 shown]
	v_add_co_u32 v16, vcc_lo, v16, s5
	v_add_co_ci_u32_e32 v17, vcc_lo, s7, v17, vcc_lo
	v_add_co_u32 v30, vcc_lo, v16, s4
	v_add_co_ci_u32_e32 v31, vcc_lo, s6, v17, vcc_lo
	v_cvt_f32_f64_e32 v2, v[2:3]
	v_cvt_f32_f64_e32 v3, v[20:21]
	v_add_co_u32 v20, vcc_lo, v30, s5
	v_add_co_ci_u32_e32 v21, vcc_lo, s7, v31, vcc_lo
	v_cvt_f32_f64_e32 v6, v[6:7]
	v_cvt_f32_f64_e32 v7, v[8:9]
	;; [unrolled: 4-line block ×3, first 2 shown]
	v_cvt_f32_f64_e32 v22, v[24:25]
	v_cvt_f32_f64_e32 v23, v[10:11]
	;; [unrolled: 1-line block ×6, first 2 shown]
	v_add_co_u32 v14, vcc_lo, v8, s5
	v_add_co_ci_u32_e32 v15, vcc_lo, s7, v9, vcc_lo
	global_store_dwordx2 v[16:17], v[0:1], off
	v_add_co_u32 v0, vcc_lo, v14, s4
	v_add_co_ci_u32_e32 v1, vcc_lo, s6, v15, vcc_lo
	global_store_dwordx2 v[30:31], v[4:5], off
	;; [unrolled: 3-line block ×4, first 2 shown]
	global_store_dwordx2 v[14:15], v[18:19], off
	global_store_dwordx2 v[0:1], v[22:23], off
	;; [unrolled: 1-line block ×4, first 2 shown]
.LBB0_26:
	s_endpgm
	.section	.rodata,"a",@progbits
	.p2align	6, 0x0
	.amdhsa_kernel bluestein_single_fwd_len1260_dim1_sp_op_CI_CI
		.amdhsa_group_segment_fixed_size 10080
		.amdhsa_private_segment_fixed_size 112
		.amdhsa_kernarg_size 104
		.amdhsa_user_sgpr_count 6
		.amdhsa_user_sgpr_private_segment_buffer 1
		.amdhsa_user_sgpr_dispatch_ptr 0
		.amdhsa_user_sgpr_queue_ptr 0
		.amdhsa_user_sgpr_kernarg_segment_ptr 1
		.amdhsa_user_sgpr_dispatch_id 0
		.amdhsa_user_sgpr_flat_scratch_init 0
		.amdhsa_user_sgpr_private_segment_size 0
		.amdhsa_wavefront_size32 1
		.amdhsa_uses_dynamic_stack 0
		.amdhsa_system_sgpr_private_segment_wavefront_offset 1
		.amdhsa_system_sgpr_workgroup_id_x 1
		.amdhsa_system_sgpr_workgroup_id_y 0
		.amdhsa_system_sgpr_workgroup_id_z 0
		.amdhsa_system_sgpr_workgroup_info 0
		.amdhsa_system_vgpr_workitem_id 0
		.amdhsa_next_free_vgpr 256
		.amdhsa_next_free_sgpr 24
		.amdhsa_reserve_vcc 1
		.amdhsa_reserve_flat_scratch 0
		.amdhsa_float_round_mode_32 0
		.amdhsa_float_round_mode_16_64 0
		.amdhsa_float_denorm_mode_32 3
		.amdhsa_float_denorm_mode_16_64 3
		.amdhsa_dx10_clamp 1
		.amdhsa_ieee_mode 1
		.amdhsa_fp16_overflow 0
		.amdhsa_workgroup_processor_mode 1
		.amdhsa_memory_ordered 1
		.amdhsa_forward_progress 0
		.amdhsa_shared_vgpr_count 0
		.amdhsa_exception_fp_ieee_invalid_op 0
		.amdhsa_exception_fp_denorm_src 0
		.amdhsa_exception_fp_ieee_div_zero 0
		.amdhsa_exception_fp_ieee_overflow 0
		.amdhsa_exception_fp_ieee_underflow 0
		.amdhsa_exception_fp_ieee_inexact 0
		.amdhsa_exception_int_div_zero 0
	.end_amdhsa_kernel
	.text
.Lfunc_end0:
	.size	bluestein_single_fwd_len1260_dim1_sp_op_CI_CI, .Lfunc_end0-bluestein_single_fwd_len1260_dim1_sp_op_CI_CI
                                        ; -- End function
	.section	.AMDGPU.csdata,"",@progbits
; Kernel info:
; codeLenInByte = 21604
; NumSgprs: 26
; NumVgprs: 256
; ScratchSize: 112
; MemoryBound: 0
; FloatMode: 240
; IeeeMode: 1
; LDSByteSize: 10080 bytes/workgroup (compile time only)
; SGPRBlocks: 3
; VGPRBlocks: 31
; NumSGPRsForWavesPerEU: 26
; NumVGPRsForWavesPerEU: 256
; Occupancy: 4
; WaveLimiterHint : 1
; COMPUTE_PGM_RSRC2:SCRATCH_EN: 1
; COMPUTE_PGM_RSRC2:USER_SGPR: 6
; COMPUTE_PGM_RSRC2:TRAP_HANDLER: 0
; COMPUTE_PGM_RSRC2:TGID_X_EN: 1
; COMPUTE_PGM_RSRC2:TGID_Y_EN: 0
; COMPUTE_PGM_RSRC2:TGID_Z_EN: 0
; COMPUTE_PGM_RSRC2:TIDIG_COMP_CNT: 0
	.text
	.p2alignl 6, 3214868480
	.fill 48, 4, 3214868480
	.type	__hip_cuid_5eab62b2fc6ecb4,@object ; @__hip_cuid_5eab62b2fc6ecb4
	.section	.bss,"aw",@nobits
	.globl	__hip_cuid_5eab62b2fc6ecb4
__hip_cuid_5eab62b2fc6ecb4:
	.byte	0                               ; 0x0
	.size	__hip_cuid_5eab62b2fc6ecb4, 1

	.ident	"AMD clang version 19.0.0git (https://github.com/RadeonOpenCompute/llvm-project roc-6.4.0 25133 c7fe45cf4b819c5991fe208aaa96edf142730f1d)"
	.section	".note.GNU-stack","",@progbits
	.addrsig
	.addrsig_sym __hip_cuid_5eab62b2fc6ecb4
	.amdgpu_metadata
---
amdhsa.kernels:
  - .args:
      - .actual_access:  read_only
        .address_space:  global
        .offset:         0
        .size:           8
        .value_kind:     global_buffer
      - .actual_access:  read_only
        .address_space:  global
        .offset:         8
        .size:           8
        .value_kind:     global_buffer
      - .actual_access:  read_only
        .address_space:  global
        .offset:         16
        .size:           8
        .value_kind:     global_buffer
      - .actual_access:  read_only
        .address_space:  global
        .offset:         24
        .size:           8
        .value_kind:     global_buffer
      - .actual_access:  read_only
        .address_space:  global
        .offset:         32
        .size:           8
        .value_kind:     global_buffer
      - .offset:         40
        .size:           8
        .value_kind:     by_value
      - .address_space:  global
        .offset:         48
        .size:           8
        .value_kind:     global_buffer
      - .address_space:  global
        .offset:         56
        .size:           8
        .value_kind:     global_buffer
      - .address_space:  global
        .offset:         64
        .size:           8
        .value_kind:     global_buffer
      - .address_space:  global
        .offset:         72
        .size:           8
        .value_kind:     global_buffer
      - .offset:         80
        .size:           4
        .value_kind:     by_value
      - .address_space:  global
        .offset:         88
        .size:           8
        .value_kind:     global_buffer
      - .address_space:  global
        .offset:         96
        .size:           8
        .value_kind:     global_buffer
    .group_segment_fixed_size: 10080
    .kernarg_segment_align: 8
    .kernarg_segment_size: 104
    .language:       OpenCL C
    .language_version:
      - 2
      - 0
    .max_flat_workgroup_size: 63
    .name:           bluestein_single_fwd_len1260_dim1_sp_op_CI_CI
    .private_segment_fixed_size: 112
    .sgpr_count:     26
    .sgpr_spill_count: 0
    .symbol:         bluestein_single_fwd_len1260_dim1_sp_op_CI_CI.kd
    .uniform_work_group_size: 1
    .uses_dynamic_stack: false
    .vgpr_count:     256
    .vgpr_spill_count: 27
    .wavefront_size: 32
    .workgroup_processor_mode: 1
amdhsa.target:   amdgcn-amd-amdhsa--gfx1030
amdhsa.version:
  - 1
  - 2
...

	.end_amdgpu_metadata
